;; amdgpu-corpus repo=ROCm/rocFFT kind=compiled arch=gfx1030 opt=O3
	.text
	.amdgcn_target "amdgcn-amd-amdhsa--gfx1030"
	.amdhsa_code_object_version 6
	.protected	fft_rtc_fwd_len2016_factors_2_2_2_2_2_3_3_7_wgs_224_tpt_112_halfLds_half_ip_CI_unitstride_sbrr_C2R_dirReg ; -- Begin function fft_rtc_fwd_len2016_factors_2_2_2_2_2_3_3_7_wgs_224_tpt_112_halfLds_half_ip_CI_unitstride_sbrr_C2R_dirReg
	.globl	fft_rtc_fwd_len2016_factors_2_2_2_2_2_3_3_7_wgs_224_tpt_112_halfLds_half_ip_CI_unitstride_sbrr_C2R_dirReg
	.p2align	8
	.type	fft_rtc_fwd_len2016_factors_2_2_2_2_2_3_3_7_wgs_224_tpt_112_halfLds_half_ip_CI_unitstride_sbrr_C2R_dirReg,@function
fft_rtc_fwd_len2016_factors_2_2_2_2_2_3_3_7_wgs_224_tpt_112_halfLds_half_ip_CI_unitstride_sbrr_C2R_dirReg: ; @fft_rtc_fwd_len2016_factors_2_2_2_2_2_3_3_7_wgs_224_tpt_112_halfLds_half_ip_CI_unitstride_sbrr_C2R_dirReg
; %bb.0:
	s_clause 0x2
	s_load_dwordx4 s[8:11], s[4:5], 0x0
	s_load_dwordx2 s[2:3], s[4:5], 0x50
	s_load_dwordx2 s[12:13], s[4:5], 0x18
	v_mul_u32_u24_e32 v1, 0x24a, v0
	v_mov_b32_e32 v3, 0
	v_lshrrev_b32_e32 v9, 16, v1
	v_mov_b32_e32 v1, 0
	v_mov_b32_e32 v6, v3
	v_mov_b32_e32 v2, 0
	v_lshl_add_u32 v5, s6, 1, v9
	s_waitcnt lgkmcnt(0)
	v_cmp_lt_u64_e64 s0, s[10:11], 2
	s_and_b32 vcc_lo, exec_lo, s0
	s_cbranch_vccnz .LBB0_8
; %bb.1:
	s_load_dwordx2 s[0:1], s[4:5], 0x10
	v_mov_b32_e32 v1, 0
	s_add_u32 s6, s12, 8
	v_mov_b32_e32 v2, 0
	s_addc_u32 s7, s13, 0
	s_mov_b64 s[16:17], 1
	s_waitcnt lgkmcnt(0)
	s_add_u32 s14, s0, 8
	s_addc_u32 s15, s1, 0
.LBB0_2:                                ; =>This Inner Loop Header: Depth=1
	s_load_dwordx2 s[18:19], s[14:15], 0x0
                                        ; implicit-def: $vgpr7_vgpr8
	s_mov_b32 s0, exec_lo
	s_waitcnt lgkmcnt(0)
	v_or_b32_e32 v4, s19, v6
	v_cmpx_ne_u64_e32 0, v[3:4]
	s_xor_b32 s1, exec_lo, s0
	s_cbranch_execz .LBB0_4
; %bb.3:                                ;   in Loop: Header=BB0_2 Depth=1
	v_cvt_f32_u32_e32 v4, s18
	v_cvt_f32_u32_e32 v7, s19
	s_sub_u32 s0, 0, s18
	s_subb_u32 s20, 0, s19
	v_fmac_f32_e32 v4, 0x4f800000, v7
	v_rcp_f32_e32 v4, v4
	v_mul_f32_e32 v4, 0x5f7ffffc, v4
	v_mul_f32_e32 v7, 0x2f800000, v4
	v_trunc_f32_e32 v7, v7
	v_fmac_f32_e32 v4, 0xcf800000, v7
	v_cvt_u32_f32_e32 v7, v7
	v_cvt_u32_f32_e32 v4, v4
	v_mul_lo_u32 v8, s0, v7
	v_mul_hi_u32 v10, s0, v4
	v_mul_lo_u32 v11, s20, v4
	v_add_nc_u32_e32 v8, v10, v8
	v_mul_lo_u32 v10, s0, v4
	v_add_nc_u32_e32 v8, v8, v11
	v_mul_hi_u32 v11, v4, v10
	v_mul_lo_u32 v12, v4, v8
	v_mul_hi_u32 v13, v4, v8
	v_mul_hi_u32 v14, v7, v10
	v_mul_lo_u32 v10, v7, v10
	v_mul_hi_u32 v15, v7, v8
	v_mul_lo_u32 v8, v7, v8
	v_add_co_u32 v11, vcc_lo, v11, v12
	v_add_co_ci_u32_e32 v12, vcc_lo, 0, v13, vcc_lo
	v_add_co_u32 v10, vcc_lo, v11, v10
	v_add_co_ci_u32_e32 v10, vcc_lo, v12, v14, vcc_lo
	v_add_co_ci_u32_e32 v11, vcc_lo, 0, v15, vcc_lo
	v_add_co_u32 v8, vcc_lo, v10, v8
	v_add_co_ci_u32_e32 v10, vcc_lo, 0, v11, vcc_lo
	v_add_co_u32 v4, vcc_lo, v4, v8
	v_add_co_ci_u32_e32 v7, vcc_lo, v7, v10, vcc_lo
	v_mul_hi_u32 v8, s0, v4
	v_mul_lo_u32 v11, s20, v4
	v_mul_lo_u32 v10, s0, v7
	v_add_nc_u32_e32 v8, v8, v10
	v_mul_lo_u32 v10, s0, v4
	v_add_nc_u32_e32 v8, v8, v11
	v_mul_hi_u32 v11, v4, v10
	v_mul_lo_u32 v12, v4, v8
	v_mul_hi_u32 v13, v4, v8
	v_mul_hi_u32 v14, v7, v10
	v_mul_lo_u32 v10, v7, v10
	v_mul_hi_u32 v15, v7, v8
	v_mul_lo_u32 v8, v7, v8
	v_add_co_u32 v11, vcc_lo, v11, v12
	v_add_co_ci_u32_e32 v12, vcc_lo, 0, v13, vcc_lo
	v_add_co_u32 v10, vcc_lo, v11, v10
	v_add_co_ci_u32_e32 v10, vcc_lo, v12, v14, vcc_lo
	v_add_co_ci_u32_e32 v11, vcc_lo, 0, v15, vcc_lo
	v_add_co_u32 v8, vcc_lo, v10, v8
	v_add_co_ci_u32_e32 v10, vcc_lo, 0, v11, vcc_lo
	v_add_co_u32 v4, vcc_lo, v4, v8
	v_add_co_ci_u32_e32 v12, vcc_lo, v7, v10, vcc_lo
	v_mul_hi_u32 v14, v5, v4
	v_mad_u64_u32 v[10:11], null, v6, v4, 0
	v_mad_u64_u32 v[7:8], null, v5, v12, 0
	;; [unrolled: 1-line block ×3, first 2 shown]
	v_add_co_u32 v4, vcc_lo, v14, v7
	v_add_co_ci_u32_e32 v7, vcc_lo, 0, v8, vcc_lo
	v_add_co_u32 v4, vcc_lo, v4, v10
	v_add_co_ci_u32_e32 v4, vcc_lo, v7, v11, vcc_lo
	v_add_co_ci_u32_e32 v7, vcc_lo, 0, v13, vcc_lo
	v_add_co_u32 v4, vcc_lo, v4, v12
	v_add_co_ci_u32_e32 v10, vcc_lo, 0, v7, vcc_lo
	v_mul_lo_u32 v11, s19, v4
	v_mad_u64_u32 v[7:8], null, s18, v4, 0
	v_mul_lo_u32 v12, s18, v10
	v_sub_co_u32 v7, vcc_lo, v5, v7
	v_add3_u32 v8, v8, v12, v11
	v_sub_nc_u32_e32 v11, v6, v8
	v_subrev_co_ci_u32_e64 v11, s0, s19, v11, vcc_lo
	v_add_co_u32 v12, s0, v4, 2
	v_add_co_ci_u32_e64 v13, s0, 0, v10, s0
	v_sub_co_u32 v14, s0, v7, s18
	v_sub_co_ci_u32_e32 v8, vcc_lo, v6, v8, vcc_lo
	v_subrev_co_ci_u32_e64 v11, s0, 0, v11, s0
	v_cmp_le_u32_e32 vcc_lo, s18, v14
	v_cmp_eq_u32_e64 s0, s19, v8
	v_cndmask_b32_e64 v14, 0, -1, vcc_lo
	v_cmp_le_u32_e32 vcc_lo, s19, v11
	v_cndmask_b32_e64 v15, 0, -1, vcc_lo
	v_cmp_le_u32_e32 vcc_lo, s18, v7
	;; [unrolled: 2-line block ×3, first 2 shown]
	v_cndmask_b32_e64 v16, 0, -1, vcc_lo
	v_cmp_eq_u32_e32 vcc_lo, s19, v11
	v_cndmask_b32_e64 v7, v16, v7, s0
	v_cndmask_b32_e32 v11, v15, v14, vcc_lo
	v_add_co_u32 v14, vcc_lo, v4, 1
	v_add_co_ci_u32_e32 v15, vcc_lo, 0, v10, vcc_lo
	v_cmp_ne_u32_e32 vcc_lo, 0, v11
	v_cndmask_b32_e32 v8, v15, v13, vcc_lo
	v_cndmask_b32_e32 v11, v14, v12, vcc_lo
	v_cmp_ne_u32_e32 vcc_lo, 0, v7
	v_cndmask_b32_e32 v8, v10, v8, vcc_lo
	v_cndmask_b32_e32 v7, v4, v11, vcc_lo
.LBB0_4:                                ;   in Loop: Header=BB0_2 Depth=1
	s_andn2_saveexec_b32 s0, s1
	s_cbranch_execz .LBB0_6
; %bb.5:                                ;   in Loop: Header=BB0_2 Depth=1
	v_cvt_f32_u32_e32 v4, s18
	s_sub_i32 s1, 0, s18
	v_rcp_iflag_f32_e32 v4, v4
	v_mul_f32_e32 v4, 0x4f7ffffe, v4
	v_cvt_u32_f32_e32 v4, v4
	v_mul_lo_u32 v7, s1, v4
	v_mul_hi_u32 v7, v4, v7
	v_add_nc_u32_e32 v4, v4, v7
	v_mul_hi_u32 v4, v5, v4
	v_mul_lo_u32 v7, v4, s18
	v_add_nc_u32_e32 v8, 1, v4
	v_sub_nc_u32_e32 v7, v5, v7
	v_subrev_nc_u32_e32 v10, s18, v7
	v_cmp_le_u32_e32 vcc_lo, s18, v7
	v_cndmask_b32_e32 v7, v7, v10, vcc_lo
	v_cndmask_b32_e32 v4, v4, v8, vcc_lo
	v_cmp_le_u32_e32 vcc_lo, s18, v7
	v_add_nc_u32_e32 v8, 1, v4
	v_cndmask_b32_e32 v7, v4, v8, vcc_lo
	v_mov_b32_e32 v8, v3
.LBB0_6:                                ;   in Loop: Header=BB0_2 Depth=1
	s_or_b32 exec_lo, exec_lo, s0
	s_load_dwordx2 s[0:1], s[6:7], 0x0
	v_mul_lo_u32 v4, v8, s18
	v_mul_lo_u32 v12, v7, s19
	v_mad_u64_u32 v[10:11], null, v7, s18, 0
	s_add_u32 s16, s16, 1
	s_addc_u32 s17, s17, 0
	s_add_u32 s6, s6, 8
	s_addc_u32 s7, s7, 0
	;; [unrolled: 2-line block ×3, first 2 shown]
	v_add3_u32 v4, v11, v12, v4
	v_sub_co_u32 v5, vcc_lo, v5, v10
	v_sub_co_ci_u32_e32 v4, vcc_lo, v6, v4, vcc_lo
	s_waitcnt lgkmcnt(0)
	v_mul_lo_u32 v6, s1, v5
	v_mul_lo_u32 v4, s0, v4
	v_mad_u64_u32 v[1:2], null, s0, v5, v[1:2]
	v_cmp_ge_u64_e64 s0, s[16:17], s[10:11]
	s_and_b32 vcc_lo, exec_lo, s0
	v_add3_u32 v2, v6, v2, v4
	s_cbranch_vccnz .LBB0_9
; %bb.7:                                ;   in Loop: Header=BB0_2 Depth=1
	v_mov_b32_e32 v5, v7
	v_mov_b32_e32 v6, v8
	s_branch .LBB0_2
.LBB0_8:
	v_mov_b32_e32 v8, v6
	v_mov_b32_e32 v7, v5
.LBB0_9:
	s_lshl_b64 s[0:1], s[10:11], 3
	v_and_b32_e32 v6, 1, v9
	s_add_u32 s0, s12, s0
	s_addc_u32 s1, s13, s1
	v_mul_hi_u32 v3, 0x2492493, v0
	s_load_dwordx2 s[0:1], s[0:1], 0x0
	s_load_dwordx2 s[4:5], s[4:5], 0x20
	v_cmp_eq_u32_e32 vcc_lo, 1, v6
	v_cndmask_b32_e64 v23, 0, 0x7e1, vcc_lo
	v_mul_u32_u24_e32 v3, 0x70, v3
	v_lshlrev_b32_e32 v26, 2, v23
	v_sub_nc_u32_e32 v0, v0, v3
	s_waitcnt lgkmcnt(0)
	v_mul_lo_u32 v4, s0, v8
	v_mul_lo_u32 v5, s1, v7
	v_mad_u64_u32 v[1:2], null, s0, v7, v[1:2]
	v_cmp_gt_u64_e32 vcc_lo, s[4:5], v[7:8]
	v_add3_u32 v2, v5, v2, v4
	v_lshlrev_b64 v[2:3], 2, v[1:2]
	s_and_saveexec_b32 s1, vcc_lo
	s_cbranch_execz .LBB0_13
; %bb.10:
	v_mov_b32_e32 v1, 0
	v_add_co_u32 v4, s0, s2, v2
	v_add_co_ci_u32_e64 v5, s0, s3, v3, s0
	v_lshlrev_b64 v[6:7], 2, v[0:1]
	v_or_b32_e32 v8, 0x380, v0
	v_mov_b32_e32 v9, v1
	v_or_b32_e32 v14, 0x700, v0
	v_mov_b32_e32 v15, v1
	v_lshlrev_b32_e32 v1, 2, v0
	v_add_co_u32 v6, s0, v4, v6
	v_add_co_ci_u32_e64 v7, s0, v5, v7, s0
	v_lshlrev_b64 v[8:9], 2, v[8:9]
	v_add_co_u32 v10, s0, 0x800, v6
	v_add_co_ci_u32_e64 v11, s0, 0, v7, s0
	v_lshlrev_b64 v[14:15], 2, v[14:15]
	v_add_co_u32 v8, s0, v4, v8
	v_add_co_ci_u32_e64 v9, s0, v5, v9, s0
	v_add_co_u32 v12, s0, 0x1000, v6
	v_add_co_ci_u32_e64 v13, s0, 0, v7, s0
	s_clause 0x7
	global_load_dword v16, v[6:7], off
	global_load_dword v17, v[6:7], off offset:448
	global_load_dword v18, v[6:7], off offset:896
	;; [unrolled: 1-line block ×7, first 2 shown]
	v_add_co_u32 v6, s0, 0x1800, v6
	v_add_co_ci_u32_e64 v7, s0, 0, v7, s0
	s_clause 0x5
	global_load_dword v25, v[12:13], off offset:384
	global_load_dword v27, v[12:13], off offset:832
	;; [unrolled: 1-line block ×6, first 2 shown]
	v_add_co_u32 v12, s0, v4, v14
	v_add_co_ci_u32_e64 v13, s0, v5, v15, s0
	s_clause 0x3
	global_load_dword v8, v[8:9], off
	global_load_dword v9, v[10:11], off offset:1984
	global_load_dword v10, v[12:13], off
	global_load_dword v6, v[6:7], off offset:1472
	v_add3_u32 v1, 0, v26, v1
	s_mov_b32 s4, exec_lo
	v_add_nc_u32_e32 v7, 0x200, v1
	v_add_nc_u32_e32 v11, 0x600, v1
	;; [unrolled: 1-line block ×8, first 2 shown]
	s_waitcnt vmcnt(16)
	ds_write2_b32 v1, v16, v17 offset1:112
	s_waitcnt vmcnt(14)
	ds_write2_b32 v7, v18, v19 offset0:96 offset1:208
	s_waitcnt vmcnt(12)
	ds_write2_b32 v11, v20, v21 offset0:64 offset1:176
	;; [unrolled: 2-line block ×4, first 2 shown]
	ds_write2_b32 v14, v25, v27 offset0:96 offset1:208
	ds_write2_b32 v15, v28, v29 offset0:64 offset1:176
	;; [unrolled: 1-line block ×3, first 2 shown]
	s_waitcnt vmcnt(0)
	ds_write2_b32 v33, v10, v6 offset1:112
	v_cmpx_eq_u32_e32 0x6f, v0
	s_cbranch_execz .LBB0_12
; %bb.11:
	v_add_co_u32 v4, s0, 0x1800, v4
	v_add_co_ci_u32_e64 v5, s0, 0, v5, s0
	v_mov_b32_e32 v0, 0x6f
	global_load_dword v4, v[4:5], off offset:1920
	s_waitcnt vmcnt(0)
	ds_write_b32 v1, v4 offset:7620
.LBB0_12:
	s_or_b32 exec_lo, exec_lo, s4
.LBB0_13:
	s_or_b32 exec_lo, exec_lo, s1
	v_lshl_add_u32 v22, v23, 2, 0
	v_lshlrev_b32_e32 v7, 2, v0
	s_waitcnt lgkmcnt(0)
	s_barrier
	buffer_gl0_inv
	s_add_u32 s1, s8, 0x1f78
	v_add_nc_u32_e32 v25, v22, v7
	v_sub_nc_u32_e32 v6, v22, v7
	s_addc_u32 s4, s9, 0
	s_mov_b32 s5, exec_lo
	ds_read_u16 v10, v25
	ds_read_u16 v11, v6 offset:8064
                                        ; implicit-def: $vgpr4_vgpr5
	s_waitcnt lgkmcnt(0)
	v_add_f16_e32 v9, v11, v10
	v_sub_f16_e32 v8, v10, v11
	v_cmpx_ne_u32_e32 0, v0
	s_xor_b32 s5, exec_lo, s5
	s_cbranch_execz .LBB0_15
; %bb.14:
	v_mov_b32_e32 v1, 0
	v_add_f16_e32 v9, v11, v10
	v_sub_f16_e32 v10, v10, v11
	v_lshlrev_b64 v[4:5], 2, v[0:1]
	v_add_co_u32 v4, s0, s1, v4
	v_add_co_ci_u32_e64 v5, s0, s4, v5, s0
	global_load_dword v4, v[4:5], off
	ds_read_u16 v5, v6 offset:8066
	ds_read_u16 v8, v25 offset:2
	s_waitcnt lgkmcnt(0)
	v_add_f16_e32 v11, v5, v8
	v_sub_f16_e32 v5, v8, v5
	s_waitcnt vmcnt(0)
	v_lshrrev_b32_e32 v12, 16, v4
	v_fma_f16 v13, -v10, v12, v9
	v_fma_f16 v14, v11, v12, -v5
	v_fma_f16 v8, v11, v12, v5
	v_fma_f16 v9, v10, v12, v9
	v_fmac_f16_e32 v13, v4, v11
	v_fmac_f16_e32 v14, v10, v4
	v_fmac_f16_e32 v8, v10, v4
	v_fma_f16 v9, -v4, v11, v9
	v_mov_b32_e32 v5, v1
	v_mov_b32_e32 v4, v0
	v_pack_b32_f16 v10, v13, v14
	ds_write_b32 v6, v10 offset:8064
.LBB0_15:
	s_andn2_saveexec_b32 s0, s5
	s_cbranch_execz .LBB0_17
; %bb.16:
	ds_read_b32 v1, v22 offset:4032
	v_mov_b32_e32 v4, 0
	v_mov_b32_e32 v5, 0
	s_waitcnt lgkmcnt(0)
	v_pk_mul_f16 v1, 0xc0004000, v1
	ds_write_b32 v22, v1 offset:4032
.LBB0_17:
	s_or_b32 exec_lo, exec_lo, s0
	v_lshlrev_b64 v[4:5], 2, v[4:5]
	v_add_nc_u32_e32 v27, 0, v7
	v_add_nc_u32_e32 v24, 0xe0, v0
	;; [unrolled: 1-line block ×4, first 2 shown]
	v_and_b32_e32 v41, 1, v0
	v_add_co_u32 v4, s0, s1, v4
	v_add_co_ci_u32_e64 v5, s0, s4, v5, s0
	v_lshlrev_b32_e32 v43, 3, v24
	v_lshlrev_b32_e32 v47, 3, v39
	;; [unrolled: 1-line block ×3, first 2 shown]
	s_clause 0x3
	global_load_dword v1, v[4:5], off offset:448
	global_load_dword v10, v[4:5], off offset:896
	;; [unrolled: 1-line block ×4, first 2 shown]
	v_add_co_u32 v4, s0, 0x800, v4
	v_add_co_ci_u32_e64 v5, s0, 0, v5, s0
	v_lshlrev_b32_e32 v50, 2, v41
	v_add3_u32 v43, 0, v43, v26
	s_clause 0x2
	global_load_dword v13, v[4:5], off offset:192
	global_load_dword v14, v[4:5], off offset:640
	;; [unrolled: 1-line block ×3, first 2 shown]
	v_perm_b32 v5, v8, v9, 0x5040100
	v_or_b32_e32 v4, 0x380, v0
	v_add3_u32 v47, 0, v47, v26
	v_add3_u32 v48, 0, v48, v26
	ds_write_b32 v25, v5
	v_mov_b32_e32 v5, 0
	ds_read_b32 v16, v25 offset:448
	ds_read_b32 v17, v6 offset:7616
	v_lshlrev_b32_e32 v49, 3, v4
	v_lshlrev_b64 v[8:9], 2, v[4:5]
	v_lshlrev_b32_e32 v4, 1, v4
	v_add3_u32 v49, 0, v49, v26
	v_add_co_u32 v8, s0, s1, v8
	v_add_co_ci_u32_e64 v9, s0, s4, v9, s0
	v_cmp_gt_u32_e64 s0, 0x60, v0
	global_load_dword v9, v[8:9], off
	s_waitcnt lgkmcnt(0)
	v_add_f16_e32 v8, v16, v17
	v_add_f16_sdwa v18, v17, v16 dst_sel:DWORD dst_unused:UNUSED_PAD src0_sel:WORD_1 src1_sel:WORD_1
	v_sub_f16_e32 v19, v16, v17
	v_sub_f16_sdwa v16, v16, v17 dst_sel:DWORD dst_unused:UNUSED_PAD src0_sel:WORD_1 src1_sel:WORD_1
	s_waitcnt vmcnt(7)
	v_lshrrev_b32_e32 v20, 16, v1
	v_fma_f16 v17, v19, v20, v8
	v_fma_f16 v21, v18, v20, v16
	v_fma_f16 v8, -v19, v20, v8
	v_fma_f16 v16, v18, v20, -v16
	v_fma_f16 v17, -v1, v18, v17
	v_fmac_f16_e32 v21, v19, v1
	v_fmac_f16_e32 v8, v1, v18
	;; [unrolled: 1-line block ×3, first 2 shown]
	v_pack_b32_f16 v1, v17, v21
	v_pack_b32_f16 v8, v8, v16
	s_waitcnt vmcnt(6)
	v_lshrrev_b32_e32 v16, 16, v10
	ds_write_b32 v25, v1 offset:448
	ds_write_b32 v6, v8 offset:7616
	ds_read_b32 v1, v25 offset:896
	ds_read_b32 v8, v6 offset:7168
	s_waitcnt lgkmcnt(0)
	v_add_f16_e32 v17, v1, v8
	v_add_f16_sdwa v18, v8, v1 dst_sel:DWORD dst_unused:UNUSED_PAD src0_sel:WORD_1 src1_sel:WORD_1
	v_sub_f16_e32 v19, v1, v8
	v_sub_f16_sdwa v1, v1, v8 dst_sel:DWORD dst_unused:UNUSED_PAD src0_sel:WORD_1 src1_sel:WORD_1
	v_fma_f16 v8, v19, v16, v17
	v_fma_f16 v20, v18, v16, v1
	v_fma_f16 v17, -v19, v16, v17
	v_fma_f16 v1, v18, v16, -v1
	v_fma_f16 v8, -v10, v18, v8
	v_fmac_f16_e32 v20, v19, v10
	v_fmac_f16_e32 v17, v10, v18
	;; [unrolled: 1-line block ×3, first 2 shown]
	s_waitcnt vmcnt(5)
	v_lshrrev_b32_e32 v10, 16, v11
	v_pack_b32_f16 v8, v8, v20
	v_pack_b32_f16 v1, v17, v1
	ds_write_b32 v25, v8 offset:896
	ds_write_b32 v6, v1 offset:7168
	ds_read_b32 v1, v25 offset:1344
	ds_read_b32 v8, v6 offset:6720
	s_waitcnt lgkmcnt(0)
	v_add_f16_e32 v16, v1, v8
	v_add_f16_sdwa v17, v8, v1 dst_sel:DWORD dst_unused:UNUSED_PAD src0_sel:WORD_1 src1_sel:WORD_1
	v_sub_f16_e32 v18, v1, v8
	v_sub_f16_sdwa v1, v1, v8 dst_sel:DWORD dst_unused:UNUSED_PAD src0_sel:WORD_1 src1_sel:WORD_1
	v_fma_f16 v8, v18, v10, v16
	v_fma_f16 v19, v17, v10, v1
	v_fma_f16 v16, -v18, v10, v16
	v_fma_f16 v1, v17, v10, -v1
	s_waitcnt vmcnt(4)
	v_lshrrev_b32_e32 v10, 16, v12
	v_fma_f16 v8, -v11, v17, v8
	v_fmac_f16_e32 v19, v18, v11
	v_fmac_f16_e32 v16, v11, v17
	v_fmac_f16_e32 v1, v18, v11
	v_pack_b32_f16 v8, v8, v19
	v_pack_b32_f16 v1, v16, v1
	ds_write_b32 v25, v8 offset:1344
	ds_write_b32 v6, v1 offset:6720
	ds_read_b32 v1, v25 offset:1792
	ds_read_b32 v8, v6 offset:6272
	s_waitcnt lgkmcnt(0)
	v_add_f16_e32 v11, v1, v8
	v_add_f16_sdwa v16, v8, v1 dst_sel:DWORD dst_unused:UNUSED_PAD src0_sel:WORD_1 src1_sel:WORD_1
	v_sub_f16_e32 v17, v1, v8
	v_sub_f16_sdwa v1, v1, v8 dst_sel:DWORD dst_unused:UNUSED_PAD src0_sel:WORD_1 src1_sel:WORD_1
	v_fma_f16 v8, v17, v10, v11
	v_fma_f16 v18, v16, v10, v1
	v_fma_f16 v11, -v17, v10, v11
	v_fma_f16 v1, v16, v10, -v1
	s_waitcnt vmcnt(3)
	v_lshrrev_b32_e32 v10, 16, v13
	v_fma_f16 v8, -v12, v16, v8
	v_fmac_f16_e32 v18, v17, v12
	v_fmac_f16_e32 v11, v12, v16
	v_fmac_f16_e32 v1, v17, v12
	v_pack_b32_f16 v8, v8, v18
	v_pack_b32_f16 v1, v11, v1
	ds_write_b32 v25, v8 offset:1792
	ds_write_b32 v6, v1 offset:6272
	ds_read_b32 v1, v25 offset:2240
	ds_read_b32 v8, v6 offset:5824
	s_waitcnt lgkmcnt(0)
	v_add_f16_e32 v11, v1, v8
	v_add_f16_sdwa v12, v8, v1 dst_sel:DWORD dst_unused:UNUSED_PAD src0_sel:WORD_1 src1_sel:WORD_1
	v_sub_f16_e32 v16, v1, v8
	v_sub_f16_sdwa v1, v1, v8 dst_sel:DWORD dst_unused:UNUSED_PAD src0_sel:WORD_1 src1_sel:WORD_1
	v_fma_f16 v8, v16, v10, v11
	v_fma_f16 v17, v12, v10, v1
	v_fma_f16 v11, -v16, v10, v11
	v_fma_f16 v1, v12, v10, -v1
	s_waitcnt vmcnt(2)
	v_lshrrev_b32_e32 v10, 16, v14
	v_fma_f16 v8, -v13, v12, v8
	v_fmac_f16_e32 v17, v16, v13
	v_fmac_f16_e32 v11, v13, v12
	v_fmac_f16_e32 v1, v16, v13
	v_pack_b32_f16 v8, v8, v17
	v_pack_b32_f16 v1, v11, v1
	ds_write_b32 v25, v8 offset:2240
	ds_write_b32 v6, v1 offset:5824
	ds_read_b32 v1, v25 offset:2688
	ds_read_b32 v8, v6 offset:5376
	s_waitcnt lgkmcnt(0)
	v_add_f16_e32 v11, v1, v8
	v_add_f16_sdwa v12, v8, v1 dst_sel:DWORD dst_unused:UNUSED_PAD src0_sel:WORD_1 src1_sel:WORD_1
	v_sub_f16_e32 v13, v1, v8
	v_sub_f16_sdwa v1, v1, v8 dst_sel:DWORD dst_unused:UNUSED_PAD src0_sel:WORD_1 src1_sel:WORD_1
	v_fma_f16 v8, v13, v10, v11
	v_fma_f16 v16, v12, v10, v1
	v_fma_f16 v11, -v13, v10, v11
	v_fma_f16 v1, v12, v10, -v1
	s_waitcnt vmcnt(1)
	v_lshrrev_b32_e32 v10, 16, v15
	v_fma_f16 v8, -v14, v12, v8
	v_fmac_f16_e32 v16, v13, v14
	v_fmac_f16_e32 v11, v14, v12
	v_fmac_f16_e32 v1, v13, v14
	v_pack_b32_f16 v8, v8, v16
	v_pack_b32_f16 v1, v11, v1
	ds_write_b32 v25, v8 offset:2688
	ds_write_b32 v6, v1 offset:5376
	ds_read_b32 v1, v25 offset:3136
	ds_read_b32 v8, v6 offset:4928
	s_waitcnt lgkmcnt(0)
	v_add_f16_e32 v11, v1, v8
	v_add_f16_sdwa v12, v8, v1 dst_sel:DWORD dst_unused:UNUSED_PAD src0_sel:WORD_1 src1_sel:WORD_1
	v_sub_f16_e32 v13, v1, v8
	v_sub_f16_sdwa v1, v1, v8 dst_sel:DWORD dst_unused:UNUSED_PAD src0_sel:WORD_1 src1_sel:WORD_1
	v_fma_f16 v8, v13, v10, v11
	v_fma_f16 v14, v12, v10, v1
	v_fma_f16 v11, -v13, v10, v11
	v_fma_f16 v1, v12, v10, -v1
	v_add_nc_u32_e32 v10, 0x1c0, v0
	v_fma_f16 v8, -v15, v12, v8
	v_fmac_f16_e32 v14, v13, v15
	v_fmac_f16_e32 v11, v15, v12
	;; [unrolled: 1-line block ×3, first 2 shown]
	s_waitcnt vmcnt(0)
	v_lshrrev_b32_e32 v15, 16, v9
	v_add_nc_u32_e32 v12, 0x70, v0
	v_pack_b32_f16 v8, v8, v14
	v_add_nc_u32_e32 v13, 0x150, v0
	v_pack_b32_f16 v1, v11, v1
	ds_write_b32 v25, v8 offset:3136
	ds_write_b32 v6, v1 offset:4928
	ds_read_b32 v8, v25 offset:3584
	ds_read_b32 v14, v6 offset:4480
	v_add_nc_u32_e32 v1, v27, v26
	v_add_nc_u32_e32 v11, 0x230, v0
	v_lshlrev_b32_e32 v42, 3, v12
	v_lshlrev_b32_e32 v44, 3, v13
	;; [unrolled: 1-line block ×3, first 2 shown]
	v_add_nc_u32_e32 v51, v1, v7
	v_add_nc_u32_e32 v28, 0x400, v1
	v_add_nc_u32_e32 v30, 0x1600, v1
	v_add_nc_u32_e32 v29, 0x800, v1
	v_add_nc_u32_e32 v31, 0x1a00, v1
	v_add_nc_u32_e32 v32, 0xc00, v1
	v_lshlrev_b32_e32 v46, 3, v11
	v_add3_u32 v42, 0, v42, v26
	v_add3_u32 v44, 0, v44, v26
	;; [unrolled: 1-line block ×4, first 2 shown]
	s_waitcnt lgkmcnt(0)
	v_add_f16_e32 v16, v8, v14
	v_add_f16_sdwa v17, v14, v8 dst_sel:DWORD dst_unused:UNUSED_PAD src0_sel:WORD_1 src1_sel:WORD_1
	v_sub_f16_e32 v18, v8, v14
	v_sub_f16_sdwa v8, v8, v14 dst_sel:DWORD dst_unused:UNUSED_PAD src0_sel:WORD_1 src1_sel:WORD_1
	v_fma_f16 v7, v18, v15, v16
	v_fma_f16 v14, v17, v15, v8
	v_fma_f16 v16, -v18, v15, v16
	v_fma_f16 v15, v17, v15, -v8
	v_add_nc_u32_e32 v8, 0xe00, v1
	v_fma_f16 v7, -v9, v17, v7
	v_fmac_f16_e32 v14, v18, v9
	v_fmac_f16_e32 v16, v9, v17
	;; [unrolled: 1-line block ×3, first 2 shown]
	v_add_nc_u32_e32 v9, 0x1200, v1
	v_pack_b32_f16 v7, v7, v14
	v_pack_b32_f16 v14, v16, v15
	ds_write_b32 v25, v7 offset:3584
	ds_write_b32 v6, v14 offset:4480
	s_waitcnt lgkmcnt(0)
	s_barrier
	buffer_gl0_inv
	s_barrier
	buffer_gl0_inv
	ds_read2_b32 v[6:7], v8 offset0:112 offset1:224
	ds_read_b32 v52, v25
	ds_read2_b32 v[14:15], v1 offset0:112 offset1:224
	ds_read2_b32 v[16:17], v9 offset0:80 offset1:192
	;; [unrolled: 1-line block ×7, first 2 shown]
	ds_read_b32 v53, v1 offset:7616
	s_waitcnt lgkmcnt(0)
	s_barrier
	buffer_gl0_inv
	v_pk_add_f16 v6, v52, v6 neg_lo:[0,1] neg_hi:[0,1]
	v_pk_add_f16 v7, v14, v7 neg_lo:[0,1] neg_hi:[0,1]
	v_pk_add_f16 v16, v15, v16 neg_lo:[0,1] neg_hi:[0,1]
	v_pk_add_f16 v17, v18, v17 neg_lo:[0,1] neg_hi:[0,1]
	v_pk_add_f16 v20, v19, v20 neg_lo:[0,1] neg_hi:[0,1]
	v_pk_add_f16 v21, v33, v21 neg_lo:[0,1] neg_hi:[0,1]
	v_pk_add_f16 v35, v34, v35 neg_lo:[0,1] neg_hi:[0,1]
	v_pk_add_f16 v36, v37, v36 neg_lo:[0,1] neg_hi:[0,1]
	v_pk_add_f16 v53, v38, v53 neg_lo:[0,1] neg_hi:[0,1]
	v_pk_fma_f16 v52, v52, 2.0, v6 op_sel_hi:[1,0,1] neg_lo:[0,0,1] neg_hi:[0,0,1]
	v_pk_fma_f16 v14, v14, 2.0, v7 op_sel_hi:[1,0,1] neg_lo:[0,0,1] neg_hi:[0,0,1]
	;; [unrolled: 1-line block ×9, first 2 shown]
	ds_write2_b32 v51, v52, v6 offset1:1
	ds_write2_b32 v42, v14, v7 offset1:1
	;; [unrolled: 1-line block ×9, first 2 shown]
	s_waitcnt lgkmcnt(0)
	s_barrier
	buffer_gl0_inv
	global_load_dword v21, v50, s[8:9]
	v_lshlrev_b32_e32 v19, 1, v0
	v_lshlrev_b32_e32 v6, 1, v12
	;; [unrolled: 1-line block ×5, first 2 shown]
	v_and_or_b32 v33, 0xfc, v19, v41
	v_lshlrev_b32_e32 v17, 1, v11
	v_lshlrev_b32_e32 v18, 1, v39
	;; [unrolled: 1-line block ×3, first 2 shown]
	v_and_or_b32 v34, 0x1fc, v6, v41
	v_lshlrev_b32_e32 v33, 2, v33
	v_and_or_b32 v35, 0x3fc, v7, v41
	v_and_or_b32 v36, 0x3fc, v14, v41
	;; [unrolled: 1-line block ×6, first 2 shown]
	v_add3_u32 v50, 0, v33, v26
	v_lshlrev_b32_e32 v33, 2, v34
	v_lshlrev_b32_e32 v42, 2, v35
	;; [unrolled: 1-line block ×7, first 2 shown]
	v_add3_u32 v51, 0, v33, v26
	ds_read2_b32 v[33:34], v8 offset0:112 offset1:224
	ds_read2_b32 v[35:36], v30 offset0:48 offset1:160
	ds_read_b32 v52, v25
	ds_read_b32 v53, v1 offset:7616
	ds_read2_b32 v[37:38], v31 offset0:16 offset1:128
	ds_read2_b32 v[39:40], v9 offset0:80 offset1:192
	v_and_or_b32 v41, 0x7fc, v4, v41
	v_add3_u32 v54, 0, v42, v26
	v_add3_u32 v55, 0, v43, v26
	v_add3_u32 v56, 0, v44, v26
	v_add3_u32 v57, 0, v45, v26
	v_lshlrev_b32_e32 v41, 2, v41
	v_add3_u32 v58, 0, v46, v26
	v_add3_u32 v59, 0, v47, v26
	v_and_b32_e32 v20, 3, v0
	v_add3_u32 v60, 0, v41, v26
	ds_read2_b32 v[41:42], v1 offset0:112 offset1:224
	ds_read2_b32 v[43:44], v29 offset0:48 offset1:160
	;; [unrolled: 1-line block ×4, first 2 shown]
	s_waitcnt vmcnt(0) lgkmcnt(0)
	v_lshlrev_b32_e32 v49, 2, v20
	s_barrier
	buffer_gl0_inv
	v_pk_mul_f16 v61, v21, v33 op_sel:[0,1]
	v_pk_mul_f16 v62, v21, v34 op_sel:[0,1]
	;; [unrolled: 1-line block ×9, first 2 shown]
	v_pk_fma_f16 v70, v21, v33, v61 op_sel:[0,0,1] op_sel_hi:[1,1,0] neg_lo:[0,0,1] neg_hi:[0,0,1]
	v_pk_fma_f16 v33, v21, v33, v61 op_sel:[0,0,1] op_sel_hi:[1,0,0]
	v_pk_fma_f16 v61, v21, v34, v62 op_sel:[0,0,1] op_sel_hi:[1,1,0] neg_lo:[0,0,1] neg_hi:[0,0,1]
	v_pk_fma_f16 v34, v21, v34, v62 op_sel:[0,0,1] op_sel_hi:[1,0,0]
	;; [unrolled: 2-line block ×7, first 2 shown]
	v_pk_fma_f16 v68, v21, v39, v69 op_sel:[0,0,1] op_sel_hi:[1,1,0] neg_lo:[0,0,1] neg_hi:[0,0,1]
	v_pk_fma_f16 v71, v53, v21, v64 op_sel:[0,0,1] op_sel_hi:[1,1,0] neg_lo:[0,0,1] neg_hi:[0,0,1]
	v_pk_fma_f16 v53, v53, v21, v64 op_sel:[0,0,1] op_sel_hi:[1,0,0]
	v_pk_fma_f16 v21, v21, v39, v69 op_sel:[0,0,1] op_sel_hi:[1,0,0]
	v_bfi_b32 v33, 0xffff, v70, v33
	v_bfi_b32 v34, 0xffff, v61, v34
	v_bfi_b32 v40, 0xffff, v67, v40
	v_bfi_b32 v35, 0xffff, v63, v35
	v_bfi_b32 v21, 0xffff, v68, v21
	v_bfi_b32 v36, 0xffff, v66, v36
	v_bfi_b32 v39, 0xffff, v71, v53
	v_bfi_b32 v38, 0xffff, v62, v38
	v_bfi_b32 v37, 0xffff, v65, v37
	v_pk_add_f16 v33, v52, v33 neg_lo:[0,1] neg_hi:[0,1]
	v_pk_add_f16 v34, v41, v34 neg_lo:[0,1] neg_hi:[0,1]
	;; [unrolled: 1-line block ×9, first 2 shown]
	v_pk_fma_f16 v52, v52, 2.0, v33 op_sel_hi:[1,0,1] neg_lo:[0,0,1] neg_hi:[0,0,1]
	v_pk_fma_f16 v41, v41, 2.0, v34 op_sel_hi:[1,0,1] neg_lo:[0,0,1] neg_hi:[0,0,1]
	;; [unrolled: 1-line block ×9, first 2 shown]
	ds_write2_b32 v50, v52, v33 offset1:2
	ds_write2_b32 v51, v41, v34 offset1:2
	;; [unrolled: 1-line block ×9, first 2 shown]
	s_waitcnt lgkmcnt(0)
	s_barrier
	buffer_gl0_inv
	global_load_dword v47, v49, s[8:9] offset:8
	v_and_or_b32 v21, 0xf8, v19, v20
	v_and_or_b32 v33, 0x1f8, v6, v20
	;; [unrolled: 1-line block ×5, first 2 shown]
	v_lshlrev_b32_e32 v21, 2, v21
	v_and_or_b32 v37, 0x5f8, v17, v20
	v_and_or_b32 v38, 0x7f8, v18, v20
	;; [unrolled: 1-line block ×4, first 2 shown]
	v_add3_u32 v50, 0, v21, v26
	v_lshlrev_b32_e32 v21, 2, v33
	v_lshlrev_b32_e32 v33, 2, v34
	;; [unrolled: 1-line block ×5, first 2 shown]
	v_add3_u32 v51, 0, v21, v26
	ds_read2_b32 v[20:21], v8 offset0:112 offset1:224
	v_add3_u32 v52, 0, v33, v26
	ds_read2_b32 v[33:34], v31 offset0:16 offset1:128
	;; [unrolled: 2-line block ×3, first 2 shown]
	v_lshlrev_b32_e32 v41, 2, v37
	v_lshlrev_b32_e32 v42, 2, v38
	ds_read2_b32 v[37:38], v9 offset0:80 offset1:192
	ds_read_b32 v55, v25
	ds_read_b32 v56, v1 offset:7616
	v_lshlrev_b32_e32 v39, 2, v39
	v_add3_u32 v54, 0, v40, v26
	v_add3_u32 v57, 0, v41, v26
	;; [unrolled: 1-line block ×5, first 2 shown]
	ds_read2_b32 v[39:40], v1 offset0:112 offset1:224
	ds_read2_b32 v[41:42], v29 offset0:48 offset1:160
	;; [unrolled: 1-line block ×4, first 2 shown]
	v_and_b32_e32 v48, 7, v0
	s_waitcnt vmcnt(0) lgkmcnt(0)
	s_barrier
	buffer_gl0_inv
	v_lshlrev_b32_e32 v49, 2, v48
	v_pk_mul_f16 v61, v47, v20 op_sel:[0,1]
	v_pk_mul_f16 v62, v47, v21 op_sel:[0,1]
	;; [unrolled: 1-line block ×9, first 2 shown]
	v_pk_fma_f16 v70, v47, v20, v61 op_sel:[0,0,1] op_sel_hi:[1,1,0] neg_lo:[0,0,1] neg_hi:[0,0,1]
	v_pk_fma_f16 v20, v47, v20, v61 op_sel:[0,0,1] op_sel_hi:[1,0,0]
	v_pk_fma_f16 v61, v47, v21, v62 op_sel:[0,0,1] op_sel_hi:[1,1,0] neg_lo:[0,0,1] neg_hi:[0,0,1]
	v_pk_fma_f16 v21, v47, v21, v62 op_sel:[0,0,1] op_sel_hi:[1,0,0]
	;; [unrolled: 2-line block ×9, first 2 shown]
	v_bfi_b32 v20, 0xffff, v70, v20
	v_bfi_b32 v21, 0xffff, v61, v21
	v_bfi_b32 v37, 0xffff, v67, v37
	v_bfi_b32 v38, 0xffff, v66, v38
	v_bfi_b32 v35, 0xffff, v65, v35
	v_bfi_b32 v33, 0xffff, v62, v33
	v_bfi_b32 v47, 0xffff, v71, v56
	v_bfi_b32 v34, 0xffff, v63, v34
	v_bfi_b32 v36, 0xffff, v64, v36
	v_pk_add_f16 v20, v55, v20 neg_lo:[0,1] neg_hi:[0,1]
	v_pk_add_f16 v21, v39, v21 neg_lo:[0,1] neg_hi:[0,1]
	;; [unrolled: 1-line block ×9, first 2 shown]
	v_pk_fma_f16 v55, v55, 2.0, v20 op_sel_hi:[1,0,1] neg_lo:[0,0,1] neg_hi:[0,0,1]
	v_pk_fma_f16 v39, v39, 2.0, v21 op_sel_hi:[1,0,1] neg_lo:[0,0,1] neg_hi:[0,0,1]
	v_pk_fma_f16 v40, v40, 2.0, v37 op_sel_hi:[1,0,1] neg_lo:[0,0,1] neg_hi:[0,0,1]
	v_pk_fma_f16 v45, v45, 2.0, v38 op_sel_hi:[1,0,1] neg_lo:[0,0,1] neg_hi:[0,0,1]
	v_pk_fma_f16 v46, v46, 2.0, v35 op_sel_hi:[1,0,1] neg_lo:[0,0,1] neg_hi:[0,0,1]
	v_pk_fma_f16 v42, v42, 2.0, v33 op_sel_hi:[1,0,1] neg_lo:[0,0,1] neg_hi:[0,0,1]
	v_pk_fma_f16 v41, v41, 2.0, v36 op_sel_hi:[1,0,1] neg_lo:[0,0,1] neg_hi:[0,0,1]
	v_pk_fma_f16 v44, v44, 2.0, v47 op_sel_hi:[1,0,1] neg_lo:[0,0,1] neg_hi:[0,0,1]
	v_pk_fma_f16 v43, v43, 2.0, v34 op_sel_hi:[1,0,1] neg_lo:[0,0,1] neg_hi:[0,0,1]
	ds_write2_b32 v50, v55, v20 offset1:4
	ds_write2_b32 v51, v39, v21 offset1:4
	;; [unrolled: 1-line block ×9, first 2 shown]
	s_waitcnt lgkmcnt(0)
	s_barrier
	buffer_gl0_inv
	global_load_dword v47, v49, s[8:9] offset:24
	v_and_or_b32 v20, 0xf0, v19, v48
	v_and_or_b32 v21, 0x1f0, v6, v48
	;; [unrolled: 1-line block ×5, first 2 shown]
	v_lshlrev_b32_e32 v20, 2, v20
	v_and_or_b32 v36, 0x5f0, v17, v48
	v_and_or_b32 v37, 0x7f0, v18, v48
	;; [unrolled: 1-line block ×4, first 2 shown]
	v_add3_u32 v48, 0, v20, v26
	v_lshlrev_b32_e32 v20, 2, v21
	v_lshlrev_b32_e32 v33, 2, v33
	;; [unrolled: 1-line block ×5, first 2 shown]
	v_add3_u32 v51, 0, v20, v26
	ds_read2_b32 v[20:21], v8 offset0:112 offset1:224
	v_add3_u32 v52, 0, v33, v26
	ds_read2_b32 v[33:34], v31 offset0:16 offset1:128
	ds_read2_b32 v[35:36], v30 offset0:48 offset1:160
	v_lshlrev_b32_e32 v43, 2, v37
	v_lshlrev_b32_e32 v44, 2, v38
	ds_read2_b32 v[37:38], v9 offset0:80 offset1:192
	ds_read_b32 v55, v25
	ds_read_b32 v56, v1 offset:7616
	v_lshlrev_b32_e32 v39, 2, v39
	v_add3_u32 v53, 0, v40, v26
	v_add3_u32 v54, 0, v41, v26
	;; [unrolled: 1-line block ×6, first 2 shown]
	ds_read2_b32 v[39:40], v1 offset0:112 offset1:224
	ds_read2_b32 v[41:42], v29 offset0:48 offset1:160
	;; [unrolled: 1-line block ×4, first 2 shown]
	v_and_b32_e32 v49, 15, v0
	s_waitcnt vmcnt(0) lgkmcnt(0)
	s_barrier
	buffer_gl0_inv
	v_lshlrev_b32_e32 v50, 2, v49
	v_and_or_b32 v6, 0x1e0, v6, v49
	v_and_or_b32 v7, 0x3e0, v7, v49
	;; [unrolled: 1-line block ×6, first 2 shown]
	v_lshlrev_b32_e32 v6, 2, v6
	v_and_or_b32 v18, 0x7e0, v18, v49
	v_and_or_b32 v4, 0x7e0, v4, v49
	v_lshlrev_b32_e32 v18, 2, v18
	v_lshlrev_b32_e32 v4, 2, v4
	v_add3_u32 v18, 0, v18, v26
	v_add3_u32 v4, 0, v4, v26
	v_pk_mul_f16 v61, v47, v20 op_sel:[0,1]
	v_pk_mul_f16 v62, v47, v21 op_sel:[0,1]
	;; [unrolled: 1-line block ×9, first 2 shown]
	v_pk_fma_f16 v70, v47, v20, v61 op_sel:[0,0,1] op_sel_hi:[1,1,0] neg_lo:[0,0,1] neg_hi:[0,0,1]
	v_pk_fma_f16 v20, v47, v20, v61 op_sel:[0,0,1] op_sel_hi:[1,0,0]
	v_pk_fma_f16 v61, v47, v21, v62 op_sel:[0,0,1] op_sel_hi:[1,1,0] neg_lo:[0,0,1] neg_hi:[0,0,1]
	v_pk_fma_f16 v21, v47, v21, v62 op_sel:[0,0,1] op_sel_hi:[1,0,0]
	;; [unrolled: 2-line block ×9, first 2 shown]
	v_bfi_b32 v20, 0xffff, v70, v20
	v_bfi_b32 v21, 0xffff, v61, v21
	;; [unrolled: 1-line block ×9, first 2 shown]
	v_pk_add_f16 v20, v55, v20 neg_lo:[0,1] neg_hi:[0,1]
	v_pk_add_f16 v21, v39, v21 neg_lo:[0,1] neg_hi:[0,1]
	;; [unrolled: 1-line block ×9, first 2 shown]
	v_pk_fma_f16 v55, v55, 2.0, v20 op_sel_hi:[1,0,1] neg_lo:[0,0,1] neg_hi:[0,0,1]
	v_pk_fma_f16 v39, v39, 2.0, v21 op_sel_hi:[1,0,1] neg_lo:[0,0,1] neg_hi:[0,0,1]
	;; [unrolled: 1-line block ×9, first 2 shown]
	ds_write2_b32 v48, v55, v20 offset1:8
	ds_write2_b32 v51, v39, v21 offset1:8
	;; [unrolled: 1-line block ×9, first 2 shown]
	s_waitcnt lgkmcnt(0)
	s_barrier
	buffer_gl0_inv
	global_load_dword v44, v50, s[8:9] offset:56
	v_and_or_b32 v34, 0xe0, v19, v49
	v_lshlrev_b32_e32 v35, 2, v14
	v_lshlrev_b32_e32 v36, 2, v15
	;; [unrolled: 1-line block ×5, first 2 shown]
	v_add3_u32 v49, 0, v6, v26
	v_add3_u32 v52, 0, v35, v26
	;; [unrolled: 1-line block ×5, first 2 shown]
	v_lshlrev_b32_e32 v34, 2, v7
	ds_read2_b32 v[6:7], v31 offset0:16 offset1:128
	ds_read_b32 v50, v1 offset:7616
	ds_read2_b32 v[14:15], v30 offset0:48 offset1:160
	ds_read2_b32 v[16:17], v9 offset0:80 offset1:192
	v_add3_u32 v55, 0, v38, v26
	v_add3_u32 v51, 0, v34, v26
	ds_read2_b32 v[34:35], v8 offset0:112 offset1:224
	ds_read2_b32 v[36:37], v29 offset0:48 offset1:160
	ds_read2_b32 v[38:39], v32 offset0:16 offset1:128
	ds_read2_b32 v[40:41], v28 offset0:80 offset1:192
	ds_read2_b32 v[42:43], v1 offset0:112 offset1:224
	ds_read_b32 v56, v25
	v_and_b32_e32 v19, 31, v11
	v_and_b32_e32 v20, 31, v0
	;; [unrolled: 1-line block ×4, first 2 shown]
	s_waitcnt vmcnt(0) lgkmcnt(0)
	v_lshlrev_b32_e32 v47, 3, v19
	v_lshlrev_b32_e32 v45, 3, v20
	;; [unrolled: 1-line block ×3, first 2 shown]
	s_barrier
	buffer_gl0_inv
	v_pk_mul_f16 v57, v44, v6 op_sel:[0,1]
	v_pk_mul_f16 v58, v50, v44 op_sel:[0,1]
	v_pk_mul_f16 v59, v7, v44 op_sel:[0,1]
	v_pk_mul_f16 v60, v44, v15 op_sel:[0,1]
	v_pk_mul_f16 v61, v44, v14 op_sel:[0,1]
	v_pk_mul_f16 v62, v44, v17 op_sel:[0,1]
	v_pk_mul_f16 v63, v44, v16 op_sel:[0,1]
	v_pk_mul_f16 v64, v44, v35 op_sel:[0,1]
	v_pk_mul_f16 v65, v44, v34 op_sel:[0,1]
	v_pk_fma_f16 v66, v44, v6, v57 op_sel:[0,0,1] op_sel_hi:[1,1,0] neg_lo:[0,0,1] neg_hi:[0,0,1]
	v_pk_fma_f16 v6, v44, v6, v57 op_sel:[0,0,1] op_sel_hi:[1,0,0]
	v_pk_fma_f16 v57, v50, v44, v58 op_sel:[0,0,1] op_sel_hi:[1,1,0] neg_lo:[0,0,1] neg_hi:[0,0,1]
	v_pk_fma_f16 v50, v50, v44, v58 op_sel:[0,0,1] op_sel_hi:[1,0,0]
	;; [unrolled: 2-line block ×9, first 2 shown]
	v_bfi_b32 v16, 0xffff, v62, v16
	v_bfi_b32 v17, 0xffff, v61, v17
	;; [unrolled: 1-line block ×9, first 2 shown]
	v_pk_add_f16 v34, v56, v34 neg_lo:[0,1] neg_hi:[0,1]
	v_pk_add_f16 v35, v42, v35 neg_lo:[0,1] neg_hi:[0,1]
	;; [unrolled: 1-line block ×9, first 2 shown]
	v_pk_fma_f16 v50, v56, 2.0, v34 op_sel_hi:[1,0,1] neg_lo:[0,0,1] neg_hi:[0,0,1]
	v_pk_fma_f16 v42, v42, 2.0, v35 op_sel_hi:[1,0,1] neg_lo:[0,0,1] neg_hi:[0,0,1]
	;; [unrolled: 1-line block ×9, first 2 shown]
	ds_write2_b32 v48, v50, v34 offset1:16
	ds_write2_b32 v49, v42, v35 offset1:16
	;; [unrolled: 1-line block ×9, first 2 shown]
	s_waitcnt lgkmcnt(0)
	s_barrier
	buffer_gl0_inv
	s_clause 0x5
	global_load_dword v4, v47, s[8:9] offset:120
	global_load_dwordx2 v[6:7], v45, s[8:9] offset:120
	global_load_dword v15, v47, s[8:9] offset:122
	global_load_dword v14, v47, s[8:9] offset:124
	global_load_ushort v16, v47, s[8:9] offset:126
	global_load_ushort v41, v46, s[8:9] offset:120
	v_lshlrev_b32_e32 v17, 3, v33
	s_clause 0x3
	global_load_ushort v40, v17, s[8:9] offset:122
	global_load_ushort v39, v17, s[8:9] offset:120
	;; [unrolled: 1-line block ×4, first 2 shown]
	v_lshrrev_b32_e32 v34, 5, v0
	v_mov_b32_e32 v54, 0xaaab
	v_lshrrev_b32_e32 v36, 5, v12
	v_lshrrev_b32_e32 v38, 5, v24
	;; [unrolled: 1-line block ×3, first 2 shown]
	v_add_nc_u32_e32 v35, 0xffffffa0, v0
	v_mul_u32_u24_e32 v34, 0x60, v34
	v_lshrrev_b32_e32 v43, 5, v11
	v_and_b32_e32 v44, 0xff, v12
	v_mul_u32_u24_sdwa v45, v24, v54 dst_sel:DWORD dst_unused:UNUSED_PAD src0_sel:WORD_0 src1_sel:DWORD
	v_mul_u32_u24_sdwa v46, v13, v54 dst_sel:DWORD dst_unused:UNUSED_PAD src0_sel:WORD_0 src1_sel:DWORD
	;; [unrolled: 1-line block ×3, first 2 shown]
	v_mul_u32_u24_e32 v48, 0x60, v36
	v_mul_u32_u24_e32 v38, 0x60, v38
	;; [unrolled: 1-line block ×3, first 2 shown]
	v_cndmask_b32_e64 v56, v35, v0, s0
	v_or_b32_e32 v52, v34, v20
	v_mul_u32_u24_e32 v50, 0x60, v43
	v_mul_lo_u16 v51, 0xab, v44
	v_lshrrev_b32_e32 v34, 22, v45
	v_lshrrev_b32_e32 v35, 22, v46
	;; [unrolled: 1-line block ×3, first 2 shown]
	ds_read2_b32 v[42:43], v32 offset0:16 offset1:128
	ds_read2_b32 v[44:45], v30 offset0:48 offset1:160
	;; [unrolled: 1-line block ×3, first 2 shown]
	v_or_b32_e32 v57, v48, v21
	v_or_b32_e32 v59, v38, v20
	;; [unrolled: 1-line block ×3, first 2 shown]
	ds_read2_b32 v[20:21], v29 offset0:48 offset1:160
	ds_read2_b32 v[48:49], v9 offset0:80 offset1:192
	ds_read_u16 v61, v1 offset:3586
	v_lshrrev_b32_e32 v37, 5, v13
	v_or_b32_e32 v19, v50, v19
	v_lshlrev_b32_e32 v62, 2, v52
	v_mul_lo_u16 v63, 0x60, v34
	v_lshlrev_b32_e32 v57, 2, v57
	v_mul_u32_u24_e32 v37, 0x60, v37
	v_lshlrev_b32_e32 v59, 2, v59
	v_add3_u32 v62, 0, v62, v26
	v_lshlrev_b32_e32 v60, 2, v60
	v_lshlrev_b32_e32 v19, 2, v19
	v_or_b32_e32 v58, v37, v33
	v_lshrrev_b16 v37, 14, v51
	s_waitcnt lgkmcnt(5)
	v_lshrrev_b32_e32 v66, 16, v42
	ds_read2_b32 v[50:51], v31 offset0:16 offset1:128
	s_waitcnt lgkmcnt(5)
	v_lshrrev_b32_e32 v67, 16, v45
	v_lshrrev_b32_e32 v69, 16, v44
	v_mul_lo_u16 v33, 0x60, v35
	v_mul_lo_u16 v53, 0x60, v37
	s_waitcnt lgkmcnt(4)
	v_lshrrev_b32_e32 v68, 16, v46
	v_lshrrev_b32_e32 v70, 16, v47
	s_waitcnt lgkmcnt(3)
	v_lshrrev_b32_e32 v71, 16, v21
	v_sub_nc_u16 v38, v13, v33
	v_sub_nc_u16 v33, v12, v53
	ds_read_b32 v64, v1 offset:7616
	ds_read2_b32 v[12:13], v1 offset0:112 offset1:224
	ds_read2_b32 v[52:53], v28 offset0:80 offset1:192
	ds_read_b32 v65, v25
	s_waitcnt lgkmcnt(6)
	v_lshrrev_b32_e32 v72, 16, v49
	v_lshlrev_b32_e32 v58, 2, v58
	v_add3_u32 v57, 0, v57, v26
	v_add3_u32 v59, 0, v59, v26
	;; [unrolled: 1-line block ×5, first 2 shown]
	s_waitcnt vmcnt(0) lgkmcnt(0)
	s_barrier
	v_lshrrev_b32_e32 v74, 16, v51
	buffer_gl0_inv
	v_mov_b32_e32 v55, 3
	v_and_b32_e32 v37, 0xffff, v37
	v_mul_f16_sdwa v73, v4, v42 dst_sel:DWORD dst_unused:UNUSED_PAD src0_sel:WORD_1 src1_sel:DWORD
	v_mul_f16_sdwa v75, v4, v66 dst_sel:DWORD dst_unused:UNUSED_PAD src0_sel:WORD_1 src1_sel:DWORD
	v_mul_f16_sdwa v77, v61, v6 dst_sel:DWORD dst_unused:UNUSED_PAD src0_sel:DWORD src1_sel:WORD_1
	v_lshrrev_b32_e32 v76, 16, v15
	v_fmac_f16_e32 v73, v41, v66
	v_mul_f16_sdwa v66, v14, v44 dst_sel:DWORD dst_unused:UNUSED_PAD src0_sel:WORD_1 src1_sel:DWORD
	v_fma_f16 v41, v41, v42, -v75
	v_mul_f16_sdwa v42, v14, v69 dst_sel:DWORD dst_unused:UNUSED_PAD src0_sel:WORD_1 src1_sel:DWORD
	v_fma_f16 v75, v6, v43, -v77
	v_mul_f16_sdwa v77, v67, v7 dst_sel:DWORD dst_unused:UNUSED_PAD src0_sel:DWORD src1_sel:WORD_1
	v_fmac_f16_e32 v66, v76, v69
	v_mul_f16_sdwa v43, v6, v43 dst_sel:DWORD dst_unused:UNUSED_PAD src0_sel:WORD_1 src1_sel:DWORD
	v_fma_f16 v42, v76, v44, -v42
	v_mul_f16_e32 v44, v46, v40
	v_mul_f16_e32 v40, v68, v40
	v_fma_f16 v76, v45, v7, -v77
	v_mul_f16_sdwa v77, v70, v6 dst_sel:DWORD dst_unused:UNUSED_PAD src0_sel:DWORD src1_sel:WORD_1
	v_lshrrev_b32_e32 v69, 16, v50
	v_fmac_f16_e32 v44, v68, v39
	v_fma_f16 v39, v46, v39, -v40
	v_mul_f16_sdwa v45, v45, v7 dst_sel:DWORD dst_unused:UNUSED_PAD src0_sel:DWORD src1_sel:WORD_1
	v_fma_f16 v46, v47, v6, -v77
	v_mul_f16_sdwa v47, v47, v6 dst_sel:DWORD dst_unused:UNUSED_PAD src0_sel:DWORD src1_sel:WORD_1
	v_mul_f16_sdwa v77, v6, v21 dst_sel:DWORD dst_unused:UNUSED_PAD src0_sel:WORD_1 src1_sel:DWORD
	v_fmac_f16_e32 v43, v61, v6
	v_mul_f16_sdwa v61, v7, v49 dst_sel:DWORD dst_unused:UNUSED_PAD src0_sel:WORD_1 src1_sel:DWORD
	v_lshrrev_b32_e32 v68, 16, v48
	v_fmac_f16_e32 v47, v70, v6
	v_mul_f16_sdwa v70, v51, v7 dst_sel:DWORD dst_unused:UNUSED_PAD src0_sel:DWORD src1_sel:WORD_1
	v_lshrrev_b32_e32 v40, 16, v64
	v_fmac_f16_e32 v45, v67, v7
	v_mul_f16_sdwa v67, v6, v71 dst_sel:DWORD dst_unused:UNUSED_PAD src0_sel:WORD_1 src1_sel:DWORD
	v_fmac_f16_e32 v77, v6, v71
	v_mul_f16_sdwa v71, v7, v72 dst_sel:DWORD dst_unused:UNUSED_PAD src0_sel:WORD_1 src1_sel:DWORD
	v_fmac_f16_e32 v61, v7, v72
	v_mul_f16_sdwa v72, v74, v7 dst_sel:DWORD dst_unused:UNUSED_PAD src0_sel:DWORD src1_sel:WORD_1
	v_fmac_f16_e32 v70, v74, v7
	v_mul_f16_e32 v74, v69, v18
	v_mul_f16_e32 v18, v50, v18
	v_fma_f16 v6, v6, v21, -v67
	v_fma_f16 v21, v7, v49, -v71
	v_fma_f16 v7, v51, v7, -v72
	v_fma_f16 v50, v50, v17, -v74
	v_mul_f16_e32 v71, v68, v15
	v_mul_f16_e32 v15, v48, v15
	v_fmac_f16_e32 v18, v69, v17
	v_mul_f16_e32 v17, v40, v16
	v_mul_f16_e32 v16, v64, v16
	v_lshrrev_b32_e32 v49, 16, v13
	v_lshrrev_b32_e32 v69, 16, v65
	v_fmac_f16_e32 v15, v68, v4
	v_add_f16_e32 v68, v46, v7
	v_fmac_f16_e32 v16, v40, v14
	v_add_f16_e32 v40, v43, v45
	v_lshrrev_b32_e32 v51, 16, v12
	v_lshrrev_b32_e32 v67, 16, v53
	v_fma_f16 v48, v48, v4, -v71
	v_fma_f16 v4, v64, v14, -v17
	v_add_f16_e32 v14, v75, v76
	v_add_f16_e32 v64, v49, v43
	;; [unrolled: 1-line block ×4, first 2 shown]
	v_fmac_f16_e32 v49, -0.5, v40
	v_add_f16_e32 v40, v65, v6
	v_fmac_f16_e32 v53, -0.5, v68
	v_add_f16_e32 v68, v6, v21
	v_sub_f16_e32 v74, v6, v21
	v_add_f16_e32 v6, v69, v77
	v_add_f16_e32 v17, v13, v75
	v_fmac_f16_e32 v13, -0.5, v14
	v_add_f16_e32 v14, v67, v47
	v_fmac_f16_e32 v67, -0.5, v72
	v_add_f16_e32 v21, v40, v21
	v_add_f16_e32 v40, v77, v61
	v_fmac_f16_e32 v65, -0.5, v68
	v_add_f16_e32 v68, v12, v41
	v_sub_f16_e32 v72, v77, v61
	v_add_f16_e32 v61, v6, v61
	v_add_f16_e32 v6, v51, v73
	;; [unrolled: 1-line block ×3, first 2 shown]
	v_fmac_f16_e32 v69, -0.5, v40
	v_sub_f16_e32 v40, v41, v42
	v_add_f16_e32 v41, v68, v42
	v_add_f16_e32 v42, v73, v66
	v_sub_f16_e32 v68, v73, v66
	v_add_f16_e32 v66, v6, v66
	v_add_f16_e32 v6, v52, v39
	v_sub_f16_e32 v46, v46, v7
	v_fmac_f16_e32 v51, -0.5, v42
	v_add_f16_e32 v42, v39, v50
	v_sub_f16_e32 v39, v39, v50
	v_add_f16_e32 v50, v6, v50
	v_sub_nc_u16 v6, v24, v63
	v_lshrrev_b32_e32 v63, 16, v20
	v_add_f16_e32 v7, v71, v7
	v_add_f16_e32 v71, v20, v48
	v_sub_f16_e32 v47, v47, v70
	v_add_f16_e32 v14, v14, v70
	v_add_f16_e32 v70, v48, v4
	v_lshrrev_b32_e32 v73, 16, v52
	v_sub_f16_e32 v75, v75, v76
	v_add_f16_e32 v17, v17, v76
	v_add_f16_e32 v76, v44, v18
	v_sub_f16_e32 v48, v48, v4
	v_add_f16_e32 v4, v71, v4
	v_add_f16_e32 v71, v63, v15
	v_fmac_f16_e32 v20, -0.5, v70
	v_add_f16_e32 v70, v15, v16
	v_fma_f16 v12, -0.5, v77, v12
	v_sub_f16_e32 v43, v43, v45
	v_add_f16_e32 v45, v64, v45
	v_add_f16_e32 v64, v73, v44
	v_sub_f16_e32 v44, v44, v18
	v_fmac_f16_e32 v73, -0.5, v76
	v_sub_f16_e32 v15, v15, v16
	v_add_f16_e32 v16, v71, v16
	v_fma_f16 v42, -0.5, v42, v52
	v_fmac_f16_e32 v63, -0.5, v70
	v_fmamk_f16 v70, v47, 0x3aee, v53
	v_fmac_f16_e32 v53, 0xbaee, v47
	v_fmamk_f16 v47, v46, 0xbaee, v67
	v_fmac_f16_e32 v67, 0x3aee, v46
	;; [unrolled: 2-line block ×7, first 2 shown]
	v_fmamk_f16 v43, v75, 0xbaee, v49
	v_add_f16_e32 v18, v64, v18
	v_fmac_f16_e32 v49, 0x3aee, v75
	v_fmamk_f16 v40, v44, 0x3aee, v42
	v_fmac_f16_e32 v42, 0xbaee, v44
	v_fmamk_f16 v44, v39, 0xbaee, v73
	;; [unrolled: 2-line block ×4, first 2 shown]
	v_fmac_f16_e32 v63, 0x3aee, v48
	v_pack_b32_f16 v21, v21, v61
	v_pack_b32_f16 v4, v4, v16
	;; [unrolled: 1-line block ×18, first 2 shown]
	ds_write2_b32 v62, v21, v16 offset1:32
	ds_write_b32 v62, v45 offset:256
	ds_write2_b32 v57, v41, v46 offset1:32
	ds_write_b32 v57, v12 offset:256
	;; [unrolled: 2-line block ×6, first 2 shown]
	v_mul_u32_u24_sdwa v7, v11, v54 dst_sel:DWORD dst_unused:UNUSED_PAD src0_sel:WORD_0 src1_sel:DWORD
	v_lshlrev_b32_e32 v4, 1, v56
	v_mul_lo_u16 v64, 0x60, v36
	v_lshlrev_b32_sdwa v71, v55, v6 dst_sel:DWORD dst_unused:UNUSED_PAD src0_sel:DWORD src1_sel:WORD_0
	v_lshlrev_b32_sdwa v48, v55, v33 dst_sel:DWORD dst_unused:UNUSED_PAD src0_sel:DWORD src1_sel:BYTE_0
	v_lshrrev_b32_e32 v7, 22, v7
	v_lshlrev_b64 v[14:15], 2, v[4:5]
	v_sub_nc_u16 v39, v10, v64
	s_waitcnt lgkmcnt(0)
	s_barrier
	v_mul_lo_u16 v4, 0x60, v7
	buffer_gl0_inv
	v_add_co_u32 v14, s0, s8, v14
	global_load_dwordx2 v[12:13], v48, s[8:9] offset:376
	v_lshlrev_b32_sdwa v10, v55, v38 dst_sel:DWORD dst_unused:UNUSED_PAD src0_sel:DWORD src1_sel:WORD_0
	global_load_dwordx2 v[20:21], v71, s[8:9] offset:376
	v_lshlrev_b32_sdwa v16, v55, v39 dst_sel:DWORD dst_unused:UNUSED_PAD src0_sel:DWORD src1_sel:WORD_0
	v_add_co_ci_u32_e64 v15, s0, s9, v15, s0
	v_sub_nc_u16 v4, v11, v4
	s_clause 0x2
	global_load_dwordx2 v[18:19], v10, s[8:9] offset:376
	global_load_dwordx2 v[16:17], v16, s[8:9] offset:376
	global_load_dwordx2 v[14:15], v[14:15], off offset:376
	v_cmp_lt_u32_e64 s0, 0x5f, v0
	v_lshlrev_b32_sdwa v10, v55, v4 dst_sel:DWORD dst_unused:UNUSED_PAD src0_sel:DWORD src1_sel:WORD_0
	v_mov_b32_e32 v41, 2
	v_lshlrev_b32_e32 v42, 2, v56
	v_mad_u32_u24 v49, 0x480, v35, 0
	v_cndmask_b32_e64 v40, 0, 0x480, s0
	global_load_dwordx2 v[10:11], v10, s[8:9] offset:376
	v_lshlrev_b32_sdwa v6, v41, v6 dst_sel:DWORD dst_unused:UNUSED_PAD src0_sel:DWORD src1_sel:WORD_0
	v_mad_u32_u24 v50, 0x480, v36, 0
	v_mad_u32_u24 v51, 0x480, v37, 0
	v_add_nc_u32_e32 v40, 0, v40
	v_lshlrev_b32_sdwa v52, v41, v38 dst_sel:DWORD dst_unused:UNUSED_PAD src0_sel:DWORD src1_sel:WORD_0
	v_lshlrev_b32_sdwa v53, v41, v39 dst_sel:DWORD dst_unused:UNUSED_PAD src0_sel:DWORD src1_sel:WORD_0
	;; [unrolled: 1-line block ×3, first 2 shown]
	v_lshlrev_b32_sdwa v55, v41, v33 dst_sel:DWORD dst_unused:UNUSED_PAD src0_sel:DWORD src1_sel:BYTE_0
	v_add3_u32 v42, v40, v42, v26
	v_mad_u32_u24 v40, 0x480, v34, 0
	ds_read_b32 v54, v25
	ds_read2_b32 v[34:35], v1 offset0:112 offset1:224
	ds_read2_b32 v[36:37], v32 offset0:16 offset1:128
	;; [unrolled: 1-line block ×5, first 2 shown]
	v_mad_u32_u24 v7, 0x480, v7, 0
	v_add3_u32 v51, v51, v55, v26
	v_add3_u32 v56, v40, v6, v26
	ds_read2_b32 v[40:41], v9 offset0:80 offset1:192
	ds_read2_b32 v[8:9], v29 offset0:48 offset1:160
	ds_read_b32 v29, v1 offset:7616
	v_add3_u32 v4, v7, v4, v26
	ds_read2_b32 v[6:7], v28 offset0:80 offset1:192
	v_add3_u32 v49, v49, v52, v26
	v_add3_u32 v50, v50, v53, v26
	v_add_nc_u32_e32 v43, 0x100, v1
	v_add_nc_u32_e32 v44, 0x600, v1
	;; [unrolled: 1-line block ×6, first 2 shown]
	s_waitcnt lgkmcnt(9)
	v_lshrrev_b32_e32 v52, 16, v54
	s_waitcnt lgkmcnt(8)
	v_lshrrev_b32_e32 v68, 16, v35
	;; [unrolled: 2-line block ×3, first 2 shown]
	v_lshrrev_b32_e32 v55, 16, v36
	s_waitcnt lgkmcnt(6)
	v_lshrrev_b32_e32 v57, 16, v38
	v_lshrrev_b32_e32 v59, 16, v39
	s_waitcnt lgkmcnt(5)
	v_lshrrev_b32_e32 v60, 16, v32
	s_waitcnt lgkmcnt(3)
	;; [unrolled: 2-line block ×3, first 2 shown]
	v_lshrrev_b32_e32 v65, 16, v9
	v_lshrrev_b32_e32 v61, 16, v30
	;; [unrolled: 1-line block ×5, first 2 shown]
	s_waitcnt lgkmcnt(1)
	v_lshrrev_b32_e32 v67, 16, v29
	v_lshrrev_b32_e32 v53, 16, v34
	;; [unrolled: 1-line block ×3, first 2 shown]
	s_waitcnt lgkmcnt(0)
	v_lshrrev_b32_e32 v69, 16, v6
	v_lshrrev_b32_e32 v26, 16, v7
	s_waitcnt vmcnt(0)
	s_barrier
	buffer_gl0_inv
	v_cmp_gt_u32_e64 s0, 64, v0
	v_mul_f16_sdwa v70, v12, v36 dst_sel:DWORD dst_unused:UNUSED_PAD src0_sel:WORD_1 src1_sel:DWORD
	v_mul_f16_sdwa v71, v13, v38 dst_sel:DWORD dst_unused:UNUSED_PAD src0_sel:WORD_1 src1_sel:DWORD
	v_mul_f16_sdwa v74, v58, v20 dst_sel:DWORD dst_unused:UNUSED_PAD src0_sel:DWORD src1_sel:WORD_1
	v_mul_f16_sdwa v76, v37, v20 dst_sel:DWORD dst_unused:UNUSED_PAD src0_sel:DWORD src1_sel:WORD_1
	;; [unrolled: 1-line block ×3, first 2 shown]
	v_mul_f16_sdwa v72, v12, v55 dst_sel:DWORD dst_unused:UNUSED_PAD src0_sel:WORD_1 src1_sel:DWORD
	v_mul_f16_sdwa v73, v13, v57 dst_sel:DWORD dst_unused:UNUSED_PAD src0_sel:WORD_1 src1_sel:DWORD
	v_mul_f16_sdwa v75, v59, v21 dst_sel:DWORD dst_unused:UNUSED_PAD src0_sel:DWORD src1_sel:WORD_1
	v_fmac_f16_e32 v70, v12, v55
	v_mul_f16_sdwa v55, v32, v18 dst_sel:DWORD dst_unused:UNUSED_PAD src0_sel:DWORD src1_sel:WORD_1
	v_fma_f16 v37, v37, v20, -v74
	v_fmac_f16_e32 v76, v58, v20
	v_mul_f16_sdwa v20, v14, v9 dst_sel:DWORD dst_unused:UNUSED_PAD src0_sel:WORD_1 src1_sel:DWORD
	v_fmac_f16_e32 v77, v59, v21
	v_mul_f16_sdwa v58, v14, v65 dst_sel:DWORD dst_unused:UNUSED_PAD src0_sel:WORD_1 src1_sel:DWORD
	v_mul_f16_sdwa v59, v15, v66 dst_sel:DWORD dst_unused:UNUSED_PAD src0_sel:WORD_1 src1_sel:DWORD
	v_fmac_f16_e32 v71, v13, v57
	v_mul_f16_sdwa v57, v30, v19 dst_sel:DWORD dst_unused:UNUSED_PAD src0_sel:DWORD src1_sel:WORD_1
	v_fma_f16 v12, v12, v36, -v72
	v_fma_f16 v13, v13, v38, -v73
	v_mul_f16_sdwa v36, v60, v18 dst_sel:DWORD dst_unused:UNUSED_PAD src0_sel:DWORD src1_sel:WORD_1
	v_mul_f16_sdwa v38, v61, v19 dst_sel:DWORD dst_unused:UNUSED_PAD src0_sel:DWORD src1_sel:WORD_1
	v_fma_f16 v39, v39, v21, -v75
	v_mul_f16_sdwa v21, v15, v41 dst_sel:DWORD dst_unused:UNUSED_PAD src0_sel:WORD_1 src1_sel:DWORD
	v_mul_f16_sdwa v72, v62, v16 dst_sel:DWORD dst_unused:UNUSED_PAD src0_sel:DWORD src1_sel:WORD_1
	v_mul_f16_sdwa v74, v33, v16 dst_sel:DWORD dst_unused:UNUSED_PAD src0_sel:DWORD src1_sel:WORD_1
	v_fmac_f16_e32 v55, v60, v18
	v_mul_f16_sdwa v60, v64, v10 dst_sel:DWORD dst_unused:UNUSED_PAD src0_sel:DWORD src1_sel:WORD_1
	v_fmac_f16_e32 v20, v14, v65
	v_fma_f16 v9, v14, v9, -v58
	v_fma_f16 v14, v15, v41, -v59
	v_mul_f16_sdwa v73, v63, v17 dst_sel:DWORD dst_unused:UNUSED_PAD src0_sel:DWORD src1_sel:WORD_1
	v_mul_f16_sdwa v75, v31, v17 dst_sel:DWORD dst_unused:UNUSED_PAD src0_sel:DWORD src1_sel:WORD_1
	v_fmac_f16_e32 v57, v61, v19
	v_mul_f16_sdwa v61, v40, v10 dst_sel:DWORD dst_unused:UNUSED_PAD src0_sel:DWORD src1_sel:WORD_1
	v_fma_f16 v18, v32, v18, -v36
	v_fma_f16 v19, v30, v19, -v38
	v_mul_f16_sdwa v30, v67, v11 dst_sel:DWORD dst_unused:UNUSED_PAD src0_sel:DWORD src1_sel:WORD_1
	v_mul_f16_sdwa v32, v29, v11 dst_sel:DWORD dst_unused:UNUSED_PAD src0_sel:DWORD src1_sel:WORD_1
	v_fmac_f16_e32 v21, v15, v66
	v_fma_f16 v33, v33, v16, -v72
	v_fmac_f16_e32 v74, v62, v16
	v_fma_f16 v15, v40, v10, -v60
	v_add_f16_e32 v16, v9, v14
	v_fma_f16 v31, v31, v17, -v73
	v_fmac_f16_e32 v75, v63, v17
	v_fmac_f16_e32 v61, v64, v10
	v_fma_f16 v10, v29, v11, -v30
	v_fmac_f16_e32 v32, v67, v11
	v_add_f16_e32 v11, v54, v9
	v_add_f16_e32 v29, v52, v20
	;; [unrolled: 1-line block ×3, first 2 shown]
	v_sub_f16_e32 v17, v20, v21
	v_add_f16_e32 v20, v20, v21
	v_add_f16_e32 v36, v12, v13
	;; [unrolled: 1-line block ×3, first 2 shown]
	v_fmac_f16_e32 v54, -0.5, v16
	v_add_f16_e32 v16, v8, v15
	v_sub_f16_e32 v9, v9, v14
	v_sub_f16_e32 v12, v12, v13
	v_add_f16_e32 v59, v37, v39
	v_add_f16_e32 v60, v68, v76
	v_sub_f16_e32 v62, v76, v77
	v_add_f16_e32 v63, v76, v77
	v_add_f16_e32 v65, v18, v19
	;; [unrolled: 1-line block ×10, first 2 shown]
	v_fmac_f16_e32 v52, -0.5, v20
	v_sub_f16_e32 v38, v70, v71
	v_add_f16_e32 v40, v53, v70
	v_sub_f16_e32 v15, v15, v10
	v_add_f16_e32 v20, v28, v61
	v_fmac_f16_e32 v53, -0.5, v41
	v_add_f16_e32 v21, v16, v10
	v_fma_f16 v10, -0.5, v36, v34
	v_add_f16_e32 v58, v35, v37
	v_sub_f16_e32 v37, v37, v39
	v_add_f16_e32 v64, v6, v18
	v_add_f16_e32 v66, v69, v55
	v_sub_f16_e32 v18, v18, v19
	v_sub_f16_e32 v55, v55, v57
	v_add_f16_e32 v70, v7, v33
	v_sub_f16_e32 v33, v33, v31
	v_add_f16_e32 v73, v26, v74
	v_sub_f16_e32 v74, v74, v75
	v_sub_f16_e32 v61, v61, v32
	v_fmac_f16_e32 v35, -0.5, v59
	v_fmac_f16_e32 v68, -0.5, v63
	;; [unrolled: 1-line block ×7, first 2 shown]
	v_fma_f16 v14, -0.5, v65, v6
	v_fmamk_f16 v16, v17, 0x3aee, v54
	v_fmac_f16_e32 v54, 0xbaee, v17
	v_fmamk_f16 v17, v9, 0xbaee, v52
	v_fmac_f16_e32 v52, 0x3aee, v9
	v_add_f16_e32 v40, v40, v71
	v_add_f16_e32 v29, v20, v32
	v_fmamk_f16 v9, v38, 0x3aee, v10
	v_fmamk_f16 v20, v12, 0xbaee, v53
	v_fmac_f16_e32 v10, 0xbaee, v38
	v_fmac_f16_e32 v53, 0x3aee, v12
	v_add_f16_e32 v39, v58, v39
	v_add_f16_e32 v41, v60, v77
	;; [unrolled: 1-line block ×4, first 2 shown]
	v_fmamk_f16 v12, v62, 0x3aee, v35
	v_fmac_f16_e32 v35, 0xbaee, v62
	v_fmamk_f16 v32, v37, 0xbaee, v68
	v_fmac_f16_e32 v68, 0x3aee, v37
	;; [unrolled: 2-line block ×4, first 2 shown]
	v_fmamk_f16 v18, v74, 0x3aee, v7
	v_fmamk_f16 v37, v33, 0xbaee, v26
	;; [unrolled: 1-line block ×3, first 2 shown]
	v_fmac_f16_e32 v8, 0xbaee, v61
	v_fmamk_f16 v30, v15, 0xbaee, v28
	v_fmac_f16_e32 v28, 0x3aee, v15
	v_add_f16_e32 v31, v70, v31
	v_add_f16_e32 v58, v73, v75
	v_fmac_f16_e32 v7, 0xbaee, v74
	v_fmac_f16_e32 v26, 0x3aee, v33
	v_pack_b32_f16 v11, v11, v76
	v_pack_b32_f16 v16, v16, v17
	;; [unrolled: 1-line block ×18, first 2 shown]
	ds_write2_b32 v42, v11, v16 offset1:96
	ds_write_b32 v42, v17 offset:768
	ds_write2_b32 v51, v13, v9 offset1:96
	ds_write_b32 v51, v10 offset:768
	ds_write2_b32 v56, v15, v12 offset1:96
	ds_write_b32 v56, v20 offset:768
	ds_write2_b32 v49, v19, v32 offset1:96
	ds_write_b32 v49, v14 offset:768
	ds_write2_b32 v50, v31, v18 offset1:96
	ds_write_b32 v50, v34 offset:768
	ds_write2_b32 v4, v33, v35 offset1:96
	ds_write_b32 v4, v36 offset:768
	s_waitcnt lgkmcnt(0)
	s_barrier
	buffer_gl0_inv
	ds_read2_b32 v[9:10], v43 offset0:48 offset1:224
	ds_read2_b32 v[19:20], v44 offset0:16 offset1:192
	;; [unrolled: 1-line block ×6, first 2 shown]
	ds_read_b32 v4, v25
	ds_read_b32 v36, v1 offset:7360
                                        ; implicit-def: $vgpr31
                                        ; implicit-def: $vgpr25
                                        ; implicit-def: $vgpr35
                                        ; implicit-def: $vgpr34
                                        ; implicit-def: $vgpr33
                                        ; implicit-def: $vgpr32
	s_and_saveexec_b32 s1, s0
	s_cbranch_execz .LBB0_19
; %bb.18:
	ds_read_b32 v7, v1 offset:896
	ds_read_b32 v21, v1 offset:2048
	;; [unrolled: 1-line block ×7, first 2 shown]
	s_waitcnt lgkmcnt(6)
	v_lshrrev_b32_e32 v26, 16, v7
	s_waitcnt lgkmcnt(5)
	v_lshrrev_b32_e32 v29, 16, v21
	;; [unrolled: 2-line block ×7, first 2 shown]
.LBB0_19:
	s_or_b32 exec_lo, exec_lo, s1
	v_mul_u32_u24_e32 v37, 6, v0
	s_waitcnt lgkmcnt(2)
	v_lshrrev_b32_e32 v54, 16, v12
	v_lshrrev_b32_e32 v55, 16, v14
	;; [unrolled: 1-line block ×4, first 2 shown]
	v_lshlrev_b32_e32 v41, 2, v37
	v_lshrrev_b32_e32 v58, 16, v10
	v_lshrrev_b32_e32 v59, 16, v20
	v_lshl_add_u32 v23, v23, 2, v27
	v_lshrrev_b32_e32 v27, 16, v15
	s_clause 0x1
	global_load_dwordx4 v[37:40], v41, s[8:9] offset:1144
	global_load_dwordx2 v[45:46], v41, s[8:9] offset:1160
	v_add_co_u32 v41, s1, s8, v41
	v_add_co_ci_u32_e64 v42, null, s9, 0, s1
	v_lshrrev_b32_e32 v49, 16, v13
	v_add_co_u32 v47, s1, 0xa80, v41
	v_add_co_ci_u32_e64 v48, s1, 0, v42, s1
	v_lshrrev_b32_e32 v50, 16, v11
	s_waitcnt lgkmcnt(0)
	v_lshrrev_b32_e32 v51, 16, v36
	s_clause 0x1
	global_load_dwordx4 v[41:44], v[47:48], off offset:1144
	global_load_dwordx2 v[47:48], v[47:48], off offset:1160
	v_lshrrev_b32_e32 v52, 16, v17
	v_lshrrev_b32_e32 v53, 16, v19
	s_waitcnt vmcnt(0)
	s_barrier
	buffer_gl0_inv
	v_mul_f16_sdwa v60, v37, v58 dst_sel:DWORD dst_unused:UNUSED_PAD src0_sel:WORD_1 src1_sel:DWORD
	v_mul_f16_sdwa v61, v37, v10 dst_sel:DWORD dst_unused:UNUSED_PAD src0_sel:WORD_1 src1_sel:DWORD
	;; [unrolled: 1-line block ×12, first 2 shown]
	v_fma_f16 v10, v37, v10, -v60
	v_fmac_f16_e32 v61, v37, v58
	v_fma_f16 v20, v38, v20, -v62
	v_fmac_f16_e32 v63, v38, v59
	v_fma_f16 v18, v39, v18, -v64
	v_fmac_f16_e32 v65, v39, v57
	v_fma_f16 v16, v40, v16, -v66
	v_fmac_f16_e32 v67, v40, v56
	v_fma_f16 v14, v45, v14, -v68
	v_fmac_f16_e32 v69, v45, v55
	v_fma_f16 v12, v46, v12, -v70
	v_fmac_f16_e32 v71, v46, v54
	v_mul_f16_sdwa v37, v41, v53 dst_sel:DWORD dst_unused:UNUSED_PAD src0_sel:WORD_1 src1_sel:DWORD
	v_mul_f16_sdwa v38, v41, v19 dst_sel:DWORD dst_unused:UNUSED_PAD src0_sel:WORD_1 src1_sel:DWORD
	;; [unrolled: 1-line block ×4, first 2 shown]
	v_mul_f16_sdwa v45, v27, v43 dst_sel:DWORD dst_unused:UNUSED_PAD src0_sel:DWORD src1_sel:WORD_1
	v_mul_f16_sdwa v46, v15, v43 dst_sel:DWORD dst_unused:UNUSED_PAD src0_sel:DWORD src1_sel:WORD_1
	;; [unrolled: 1-line block ×8, first 2 shown]
	v_add_f16_e32 v60, v10, v12
	v_add_f16_e32 v62, v61, v71
	v_sub_f16_e32 v10, v10, v12
	v_sub_f16_e32 v12, v61, v71
	v_add_f16_e32 v61, v20, v14
	v_add_f16_e32 v64, v63, v69
	v_sub_f16_e32 v14, v20, v14
	v_sub_f16_e32 v20, v63, v69
	;; [unrolled: 4-line block ×3, first 2 shown]
	v_fma_f16 v19, v41, v19, -v37
	v_fmac_f16_e32 v38, v41, v53
	v_fma_f16 v17, v42, v17, -v39
	v_fmac_f16_e32 v40, v42, v52
	;; [unrolled: 2-line block ×6, first 2 shown]
	v_add_f16_e32 v36, v61, v60
	v_sub_f16_e32 v42, v60, v63
	v_sub_f16_e32 v43, v62, v66
	;; [unrolled: 1-line block ×4, first 2 shown]
	v_add_f16_e32 v47, v16, v14
	v_add_f16_e32 v48, v18, v20
	v_sub_f16_e32 v49, v16, v14
	v_sub_f16_e32 v50, v18, v20
	;; [unrolled: 1-line block ×4, first 2 shown]
	v_add_f16_e32 v37, v64, v62
	v_sub_f16_e32 v39, v61, v60
	v_sub_f16_e32 v41, v64, v62
	;; [unrolled: 1-line block ×4, first 2 shown]
	v_add_f16_e32 v36, v63, v36
	v_add_f16_e32 v10, v47, v10
	;; [unrolled: 1-line block ×3, first 2 shown]
	v_mul_f16_e32 v42, 0x3a52, v42
	v_mul_f16_e32 v43, 0x3a52, v43
	;; [unrolled: 1-line block ×8, first 2 shown]
	v_add_f16_e32 v53, v19, v27
	v_add_f16_e32 v54, v38, v59
	v_sub_f16_e32 v19, v19, v27
	v_sub_f16_e32 v27, v38, v59
	v_add_f16_e32 v38, v17, v11
	v_add_f16_e32 v56, v40, v57
	;; [unrolled: 1-line block ×3, first 2 shown]
	v_sub_f16_e32 v11, v17, v11
	v_sub_f16_e32 v17, v40, v57
	v_add_f16_e32 v40, v15, v13
	v_add_f16_e32 v57, v46, v55
	v_sub_f16_e32 v13, v13, v15
	v_sub_f16_e32 v15, v55, v46
	v_add_f16_e32 v46, v4, v36
	v_fmamk_f16 v44, v44, 0x2b26, v42
	v_fmamk_f16 v45, v45, 0x2b26, v43
	v_fma_f16 v47, v39, 0x39e0, -v47
	v_fma_f16 v48, v41, 0x39e0, -v48
	;; [unrolled: 1-line block ×4, first 2 shown]
	v_fmamk_f16 v42, v16, 0x3574, v49
	v_fmamk_f16 v43, v18, 0x3574, v50
	v_fma_f16 v14, v14, 0x3b00, -v49
	v_fma_f16 v20, v20, 0x3b00, -v50
	;; [unrolled: 1-line block ×4, first 2 shown]
	v_add_f16_e32 v49, v38, v53
	v_add_f16_e32 v50, v56, v54
	v_add_f16_sdwa v4, v4, v37 dst_sel:DWORD dst_unused:UNUSED_PAD src0_sel:WORD_1 src1_sel:DWORD
	v_sub_f16_e32 v51, v38, v53
	v_sub_f16_e32 v52, v56, v54
	;; [unrolled: 1-line block ×6, first 2 shown]
	v_add_f16_e32 v56, v13, v11
	v_add_f16_e32 v58, v15, v17
	v_sub_f16_e32 v59, v13, v11
	v_sub_f16_e32 v60, v15, v17
	;; [unrolled: 1-line block ×4, first 2 shown]
	v_fmamk_f16 v36, v36, 0xbcab, v46
	v_fmac_f16_e32 v42, 0x370e, v10
	v_fmac_f16_e32 v43, 0x370e, v12
	;; [unrolled: 1-line block ×6, first 2 shown]
	v_add_f16_e32 v10, v40, v49
	v_add_f16_e32 v12, v57, v50
	v_sub_f16_e32 v13, v19, v13
	v_sub_f16_e32 v15, v27, v15
	v_fmamk_f16 v37, v37, 0xbcab, v4
	v_add_f16_e32 v19, v56, v19
	v_add_f16_e32 v27, v58, v27
	v_mul_f16_e32 v40, 0x3a52, v53
	v_mul_f16_e32 v49, 0x3a52, v54
	;; [unrolled: 1-line block ×8, first 2 shown]
	v_pack_b32_f16 v4, v46, v4
	v_add_f16_e32 v44, v44, v36
	v_add_f16_e32 v46, v47, v36
	;; [unrolled: 1-line block ×4, first 2 shown]
	v_add_f16_sdwa v9, v9, v12 dst_sel:DWORD dst_unused:UNUSED_PAD src0_sel:WORD_1 src1_sel:DWORD
	v_add_f16_e32 v45, v45, v37
	v_add_f16_e32 v47, v48, v37
	;; [unrolled: 1-line block ×3, first 2 shown]
	v_fmamk_f16 v38, v38, 0x2b26, v40
	v_fmamk_f16 v41, v55, 0x2b26, v49
	v_fma_f16 v48, v51, 0x39e0, -v50
	v_fma_f16 v50, v52, 0x39e0, -v53
	;; [unrolled: 1-line block ×4, first 2 shown]
	v_fmamk_f16 v51, v13, 0x3574, v54
	v_fmamk_f16 v52, v15, 0x3574, v56
	v_fma_f16 v11, v11, 0x3b00, -v54
	v_fma_f16 v17, v17, 0x3b00, -v56
	;; [unrolled: 1-line block ×4, first 2 shown]
	v_fmamk_f16 v10, v10, 0xbcab, v39
	v_fmamk_f16 v12, v12, 0xbcab, v9
	v_fmac_f16_e32 v51, 0x370e, v19
	v_fmac_f16_e32 v52, 0x370e, v27
	;; [unrolled: 1-line block ×6, first 2 shown]
	v_pack_b32_f16 v9, v39, v9
	v_add_f16_e32 v19, v38, v10
	v_add_f16_e32 v27, v41, v12
	;; [unrolled: 1-line block ×3, first 2 shown]
	v_sub_f16_e32 v56, v37, v16
	v_sub_f16_e32 v57, v46, v20
	v_add_f16_e32 v58, v14, v47
	v_add_f16_e32 v20, v20, v46
	v_sub_f16_e32 v14, v47, v14
	v_sub_f16_e32 v18, v36, v18
	v_add_f16_e32 v16, v16, v37
	v_sub_f16_e32 v36, v44, v43
	v_add_f16_e32 v37, v42, v45
	v_add_f16_e32 v38, v48, v10
	;; [unrolled: 1-line block ×6, first 2 shown]
	v_sub_f16_e32 v54, v45, v42
	ds_write2_b32 v1, v4, v9 offset1:112
	v_add_f16_e32 v4, v52, v19
	v_sub_f16_e32 v9, v27, v51
	v_pack_b32_f16 v14, v20, v14
	v_pack_b32_f16 v16, v18, v16
	;; [unrolled: 1-line block ×3, first 2 shown]
	v_add_f16_e32 v20, v15, v10
	v_sub_f16_e32 v36, v12, v13
	v_pack_b32_f16 v40, v53, v54
	v_sub_f16_e32 v37, v38, v17
	v_add_f16_e32 v43, v11, v39
	v_pack_b32_f16 v41, v55, v56
	v_add_f16_e32 v17, v17, v38
	v_sub_f16_e32 v11, v39, v11
	v_pack_b32_f16 v42, v57, v58
	v_sub_f16_e32 v10, v10, v15
	v_add_f16_e32 v12, v13, v12
	v_sub_f16_e32 v13, v19, v52
	v_add_f16_e32 v15, v51, v27
	v_pack_b32_f16 v4, v4, v9
	v_pack_b32_f16 v9, v20, v36
	ds_write_b32 v1, v40 offset:1152
	ds_write_b32 v1, v41 offset:2304
	;; [unrolled: 1-line block ×6, first 2 shown]
	v_pack_b32_f16 v14, v37, v43
	v_pack_b32_f16 v11, v17, v11
	;; [unrolled: 1-line block ×4, first 2 shown]
	ds_write_b32 v23, v4 offset:1600
	ds_write_b32 v23, v9 offset:2752
	;; [unrolled: 1-line block ×6, first 2 shown]
	s_and_saveexec_b32 s1, s0
	s_cbranch_execz .LBB0_21
; %bb.20:
	v_subrev_nc_u32_e32 v4, 64, v0
	v_cndmask_b32_e64 v4, v4, v24, s0
	v_mul_i32_i24_e32 v4, 6, v4
	v_lshlrev_b64 v[4:5], 2, v[4:5]
	v_add_co_u32 v4, s0, s8, v4
	v_add_co_ci_u32_e64 v5, s0, s9, v5, s0
	s_clause 0x1
	global_load_dwordx4 v[9:12], v[4:5], off offset:1144
	global_load_dwordx2 v[4:5], v[4:5], off offset:1160
	s_waitcnt vmcnt(1)
	v_mul_f16_sdwa v13, v29, v9 dst_sel:DWORD dst_unused:UNUSED_PAD src0_sel:DWORD src1_sel:WORD_1
	s_waitcnt vmcnt(0)
	v_mul_f16_sdwa v14, v35, v5 dst_sel:DWORD dst_unused:UNUSED_PAD src0_sel:DWORD src1_sel:WORD_1
	v_mul_f16_sdwa v16, v28, v11 dst_sel:DWORD dst_unused:UNUSED_PAD src0_sel:DWORD src1_sel:WORD_1
	;; [unrolled: 1-line block ×11, first 2 shown]
	v_fma_f16 v13, v21, v9, -v13
	v_fma_f16 v14, v34, v5, -v14
	;; [unrolled: 1-line block ×5, first 2 shown]
	v_fmac_f16_e32 v19, v35, v5
	v_fmac_f16_e32 v20, v29, v9
	;; [unrolled: 1-line block ×4, first 2 shown]
	v_fma_f16 v15, v25, v12, -v15
	v_fmac_f16_e32 v23, v28, v11
	v_fmac_f16_e32 v24, v31, v12
	v_sub_f16_e32 v4, v13, v14
	v_sub_f16_e32 v9, v6, v16
	v_add_f16_e32 v10, v20, v19
	v_add_f16_e32 v12, v36, v27
	v_add_f16_e32 v13, v13, v14
	v_add_f16_e32 v6, v6, v16
	v_sub_f16_e32 v5, v15, v8
	v_add_f16_e32 v11, v23, v24
	v_add_f16_e32 v8, v8, v15
	v_sub_f16_e32 v14, v20, v19
	v_sub_f16_e32 v15, v24, v23
	;; [unrolled: 1-line block ×3, first 2 shown]
	v_add_f16_e32 v21, v12, v10
	v_add_f16_e32 v25, v6, v13
	v_sub_f16_e32 v17, v4, v5
	v_sub_f16_e32 v18, v5, v9
	v_add_f16_e32 v5, v5, v9
	v_sub_f16_e32 v19, v10, v11
	v_sub_f16_e32 v20, v11, v12
	;; [unrolled: 1-line block ×6, first 2 shown]
	v_add_f16_e32 v15, v15, v16
	v_sub_f16_e32 v9, v9, v4
	v_add_f16_e32 v11, v11, v21
	v_add_f16_e32 v8, v8, v25
	v_sub_f16_e32 v10, v12, v10
	v_sub_f16_e32 v12, v16, v14
	;; [unrolled: 1-line block ×3, first 2 shown]
	v_mul_f16_e32 v13, 0xb846, v18
	v_add_f16_e32 v4, v5, v4
	v_mul_f16_e32 v5, 0x3a52, v19
	v_mul_f16_e32 v16, 0x2b26, v20
	;; [unrolled: 1-line block ×4, first 2 shown]
	v_add_f16_e32 v14, v15, v14
	v_mul_f16_e32 v15, 0x3b00, v9
	v_add_f16_e32 v26, v26, v11
	v_add_f16_e32 v7, v7, v8
	v_mul_f16_e32 v23, 0x3b00, v12
	v_mul_f16_e32 v19, 0x2b26, v24
	v_fmamk_f16 v25, v17, 0x3574, v13
	v_fmamk_f16 v20, v20, 0x2b26, v5
	;; [unrolled: 1-line block ×4, first 2 shown]
	v_fma_f16 v15, v17, 0xb574, -v15
	v_fma_f16 v5, v10, 0xb9e0, -v5
	v_fma_f16 v10, v10, 0x39e0, -v16
	v_fma_f16 v9, v9, 0x3b00, -v13
	v_fmamk_f16 v11, v11, 0xbcab, v26
	v_fmamk_f16 v8, v8, 0xbcab, v7
	v_fma_f16 v17, v6, 0xb9e0, -v18
	v_fma_f16 v18, v27, 0xb574, -v23
	;; [unrolled: 1-line block ×4, first 2 shown]
	v_fmac_f16_e32 v25, 0x370e, v4
	v_fmac_f16_e32 v28, 0x370e, v14
	;; [unrolled: 1-line block ×4, first 2 shown]
	v_pack_b32_f16 v4, v7, v26
	v_add_f16_e32 v7, v20, v11
	v_add_f16_e32 v13, v24, v8
	;; [unrolled: 1-line block ×3, first 2 shown]
	v_fmac_f16_e32 v18, 0x370e, v14
	v_fmac_f16_e32 v12, 0x370e, v14
	v_add_f16_e32 v5, v5, v11
	v_add_f16_e32 v14, v17, v8
	;; [unrolled: 1-line block ×3, first 2 shown]
	ds_write_b32 v1, v4 offset:896
	v_add_f16_e32 v4, v25, v7
	v_sub_f16_e32 v16, v10, v9
	v_add_f16_e32 v9, v9, v10
	v_sub_f16_e32 v7, v7, v25
	;; [unrolled: 2-line block ×6, first 2 shown]
	v_pack_b32_f16 v7, v10, v7
	v_pack_b32_f16 v5, v13, v5
	;; [unrolled: 1-line block ×6, first 2 shown]
	ds_write_b32 v1, v7 offset:2048
	ds_write_b32 v1, v5 offset:3200
	;; [unrolled: 1-line block ×6, first 2 shown]
.LBB0_21:
	s_or_b32 exec_lo, exec_lo, s1
	s_waitcnt lgkmcnt(0)
	s_barrier
	buffer_gl0_inv
	s_and_saveexec_b32 s0, vcc_lo
	s_cbranch_execz .LBB0_23
; %bb.22:
	v_lshl_add_u32 v18, v0, 2, v22
	v_mov_b32_e32 v1, 0
	v_add_co_u32 v19, vcc_lo, s2, v2
	v_add_co_ci_u32_e32 v20, vcc_lo, s3, v3, vcc_lo
	ds_read2_b32 v[4:5], v18 offset1:112
	v_lshlrev_b64 v[10:11], 2, v[0:1]
	v_add_nc_u32_e32 v2, 0x70, v0
	v_mov_b32_e32 v3, v1
	v_add_nc_u32_e32 v12, 0x200, v18
	v_add_nc_u32_e32 v13, 0x600, v18
	;; [unrolled: 1-line block ×3, first 2 shown]
	v_add_co_u32 v10, vcc_lo, v19, v10
	v_add_co_ci_u32_e32 v11, vcc_lo, v20, v11, vcc_lo
	v_mov_b32_e32 v7, v1
	v_lshlrev_b64 v[2:3], 2, v[2:3]
	v_add_nc_u32_e32 v8, 0x150, v0
	v_mov_b32_e32 v9, v1
	ds_read2_b32 v[14:15], v13 offset0:64 offset1:176
	v_lshlrev_b64 v[6:7], 2, v[6:7]
	v_mov_b32_e32 v13, v1
	v_add_co_u32 v2, vcc_lo, v19, v2
	s_waitcnt lgkmcnt(1)
	global_store_dword v[10:11], v4, off
	ds_read2_b32 v[10:11], v12 offset0:96 offset1:208
	v_add_nc_u32_e32 v12, 0x1c0, v0
	v_lshlrev_b64 v[8:9], 2, v[8:9]
	v_add_co_ci_u32_e32 v3, vcc_lo, v20, v3, vcc_lo
	v_add_co_u32 v6, vcc_lo, v19, v6
	v_lshlrev_b64 v[12:13], 2, v[12:13]
	v_add_co_ci_u32_e32 v7, vcc_lo, v20, v7, vcc_lo
	v_add_co_u32 v8, vcc_lo, v19, v8
	v_add_co_ci_u32_e32 v9, vcc_lo, v20, v9, vcc_lo
	v_add_co_u32 v12, vcc_lo, v19, v12
	v_add_co_ci_u32_e32 v13, vcc_lo, v20, v13, vcc_lo
	v_add_nc_u32_e32 v16, 0x230, v0
	v_mov_b32_e32 v17, v1
	global_store_dword v[2:3], v5, off
	s_waitcnt lgkmcnt(0)
	global_store_dword v[6:7], v10, off
	global_store_dword v[8:9], v11, off
	;; [unrolled: 1-line block ×3, first 2 shown]
	v_add_nc_u32_e32 v8, 0xa00, v18
	v_add_nc_u32_e32 v11, 0xc00, v18
	v_add_nc_u32_e32 v4, 0x2a0, v0
	v_mov_b32_e32 v5, v1
	v_lshlrev_b64 v[2:3], 2, v[16:17]
	ds_read2_b32 v[8:9], v8 offset0:32 offset1:144
	v_add_nc_u32_e32 v6, 0x310, v0
	v_mov_b32_e32 v7, v1
	ds_read2_b32 v[12:13], v11 offset0:128 offset1:240
	v_lshlrev_b64 v[4:5], 2, v[4:5]
	v_add_nc_u32_e32 v10, 0x380, v0
	v_mov_b32_e32 v11, v1
	v_add_co_u32 v2, vcc_lo, v19, v2
	v_lshlrev_b64 v[6:7], 2, v[6:7]
	v_add_co_ci_u32_e32 v3, vcc_lo, v20, v3, vcc_lo
	v_add_co_u32 v4, vcc_lo, v19, v4
	v_lshlrev_b64 v[10:11], 2, v[10:11]
	v_add_co_ci_u32_e32 v5, vcc_lo, v20, v5, vcc_lo
	v_add_co_u32 v6, vcc_lo, v19, v6
	v_add_co_ci_u32_e32 v7, vcc_lo, v20, v7, vcc_lo
	v_add_co_u32 v10, vcc_lo, v19, v10
	v_add_co_ci_u32_e32 v11, vcc_lo, v20, v11, vcc_lo
	v_add_nc_u32_e32 v16, 0x3f0, v0
	global_store_dword v[2:3], v15, off
	s_waitcnt lgkmcnt(1)
	global_store_dword v[4:5], v8, off
	global_store_dword v[6:7], v9, off
	s_waitcnt lgkmcnt(0)
	global_store_dword v[10:11], v12, off
	v_add_nc_u32_e32 v8, 0x1000, v18
	v_add_nc_u32_e32 v11, 0x1400, v18
	;; [unrolled: 1-line block ×3, first 2 shown]
	v_mov_b32_e32 v5, v1
	v_lshlrev_b64 v[2:3], 2, v[16:17]
	ds_read2_b32 v[8:9], v8 offset0:96 offset1:208
	v_add_nc_u32_e32 v6, 0x4d0, v0
	v_mov_b32_e32 v7, v1
	ds_read2_b32 v[14:15], v11 offset0:64 offset1:176
	v_lshlrev_b64 v[4:5], 2, v[4:5]
	v_add_nc_u32_e32 v10, 0x540, v0
	v_mov_b32_e32 v11, v1
	v_add_co_u32 v2, vcc_lo, v19, v2
	v_lshlrev_b64 v[6:7], 2, v[6:7]
	v_add_co_ci_u32_e32 v3, vcc_lo, v20, v3, vcc_lo
	v_add_co_u32 v4, vcc_lo, v19, v4
	v_lshlrev_b64 v[10:11], 2, v[10:11]
	v_add_co_ci_u32_e32 v5, vcc_lo, v20, v5, vcc_lo
	v_add_co_u32 v6, vcc_lo, v19, v6
	v_add_co_ci_u32_e32 v7, vcc_lo, v20, v7, vcc_lo
	v_add_co_u32 v10, vcc_lo, v19, v10
	v_add_co_ci_u32_e32 v11, vcc_lo, v20, v11, vcc_lo
	v_add_nc_u32_e32 v16, 0x5b0, v0
	global_store_dword v[2:3], v13, off
	s_waitcnt lgkmcnt(1)
	global_store_dword v[4:5], v8, off
	global_store_dword v[6:7], v9, off
	s_waitcnt lgkmcnt(0)
	global_store_dword v[10:11], v14, off
	v_add_nc_u32_e32 v8, 0x1800, v18
	v_add_nc_u32_e32 v4, 0x620, v0
	v_mov_b32_e32 v5, v1
	v_add_nc_u32_e32 v12, 0x1c00, v18
	v_lshlrev_b64 v[2:3], 2, v[16:17]
	v_add_nc_u32_e32 v6, 0x690, v0
	v_mov_b32_e32 v7, v1
	ds_read2_b32 v[8:9], v8 offset0:32 offset1:144
	v_lshlrev_b64 v[4:5], 2, v[4:5]
	v_add_nc_u32_e32 v10, 0x700, v0
	v_mov_b32_e32 v11, v1
	ds_read2_b32 v[12:13], v12 offset1:112
	v_add_co_u32 v2, vcc_lo, v19, v2
	v_lshlrev_b64 v[6:7], 2, v[6:7]
	v_add_nc_u32_e32 v0, 0x770, v0
	v_add_co_ci_u32_e32 v3, vcc_lo, v20, v3, vcc_lo
	v_add_co_u32 v4, vcc_lo, v19, v4
	v_lshlrev_b64 v[10:11], 2, v[10:11]
	v_add_co_ci_u32_e32 v5, vcc_lo, v20, v5, vcc_lo
	v_add_co_u32 v6, vcc_lo, v19, v6
	v_lshlrev_b64 v[0:1], 2, v[0:1]
	v_add_co_ci_u32_e32 v7, vcc_lo, v20, v7, vcc_lo
	v_add_co_u32 v10, vcc_lo, v19, v10
	v_add_co_ci_u32_e32 v11, vcc_lo, v20, v11, vcc_lo
	v_add_co_u32 v0, vcc_lo, v19, v0
	v_add_co_ci_u32_e32 v1, vcc_lo, v20, v1, vcc_lo
	global_store_dword v[2:3], v15, off
	s_waitcnt lgkmcnt(1)
	global_store_dword v[4:5], v8, off
	global_store_dword v[6:7], v9, off
	s_waitcnt lgkmcnt(0)
	global_store_dword v[10:11], v12, off
	global_store_dword v[0:1], v13, off
.LBB0_23:
	s_endpgm
	.section	.rodata,"a",@progbits
	.p2align	6, 0x0
	.amdhsa_kernel fft_rtc_fwd_len2016_factors_2_2_2_2_2_3_3_7_wgs_224_tpt_112_halfLds_half_ip_CI_unitstride_sbrr_C2R_dirReg
		.amdhsa_group_segment_fixed_size 0
		.amdhsa_private_segment_fixed_size 0
		.amdhsa_kernarg_size 88
		.amdhsa_user_sgpr_count 6
		.amdhsa_user_sgpr_private_segment_buffer 1
		.amdhsa_user_sgpr_dispatch_ptr 0
		.amdhsa_user_sgpr_queue_ptr 0
		.amdhsa_user_sgpr_kernarg_segment_ptr 1
		.amdhsa_user_sgpr_dispatch_id 0
		.amdhsa_user_sgpr_flat_scratch_init 0
		.amdhsa_user_sgpr_private_segment_size 0
		.amdhsa_wavefront_size32 1
		.amdhsa_uses_dynamic_stack 0
		.amdhsa_system_sgpr_private_segment_wavefront_offset 0
		.amdhsa_system_sgpr_workgroup_id_x 1
		.amdhsa_system_sgpr_workgroup_id_y 0
		.amdhsa_system_sgpr_workgroup_id_z 0
		.amdhsa_system_sgpr_workgroup_info 0
		.amdhsa_system_vgpr_workitem_id 0
		.amdhsa_next_free_vgpr 78
		.amdhsa_next_free_sgpr 21
		.amdhsa_reserve_vcc 1
		.amdhsa_reserve_flat_scratch 0
		.amdhsa_float_round_mode_32 0
		.amdhsa_float_round_mode_16_64 0
		.amdhsa_float_denorm_mode_32 3
		.amdhsa_float_denorm_mode_16_64 3
		.amdhsa_dx10_clamp 1
		.amdhsa_ieee_mode 1
		.amdhsa_fp16_overflow 0
		.amdhsa_workgroup_processor_mode 1
		.amdhsa_memory_ordered 1
		.amdhsa_forward_progress 0
		.amdhsa_shared_vgpr_count 0
		.amdhsa_exception_fp_ieee_invalid_op 0
		.amdhsa_exception_fp_denorm_src 0
		.amdhsa_exception_fp_ieee_div_zero 0
		.amdhsa_exception_fp_ieee_overflow 0
		.amdhsa_exception_fp_ieee_underflow 0
		.amdhsa_exception_fp_ieee_inexact 0
		.amdhsa_exception_int_div_zero 0
	.end_amdhsa_kernel
	.text
.Lfunc_end0:
	.size	fft_rtc_fwd_len2016_factors_2_2_2_2_2_3_3_7_wgs_224_tpt_112_halfLds_half_ip_CI_unitstride_sbrr_C2R_dirReg, .Lfunc_end0-fft_rtc_fwd_len2016_factors_2_2_2_2_2_3_3_7_wgs_224_tpt_112_halfLds_half_ip_CI_unitstride_sbrr_C2R_dirReg
                                        ; -- End function
	.section	.AMDGPU.csdata,"",@progbits
; Kernel info:
; codeLenInByte = 14344
; NumSgprs: 23
; NumVgprs: 78
; ScratchSize: 0
; MemoryBound: 0
; FloatMode: 240
; IeeeMode: 1
; LDSByteSize: 0 bytes/workgroup (compile time only)
; SGPRBlocks: 2
; VGPRBlocks: 9
; NumSGPRsForWavesPerEU: 23
; NumVGPRsForWavesPerEU: 78
; Occupancy: 12
; WaveLimiterHint : 1
; COMPUTE_PGM_RSRC2:SCRATCH_EN: 0
; COMPUTE_PGM_RSRC2:USER_SGPR: 6
; COMPUTE_PGM_RSRC2:TRAP_HANDLER: 0
; COMPUTE_PGM_RSRC2:TGID_X_EN: 1
; COMPUTE_PGM_RSRC2:TGID_Y_EN: 0
; COMPUTE_PGM_RSRC2:TGID_Z_EN: 0
; COMPUTE_PGM_RSRC2:TIDIG_COMP_CNT: 0
	.text
	.p2alignl 6, 3214868480
	.fill 48, 4, 3214868480
	.type	__hip_cuid_53b146c0edd74b6a,@object ; @__hip_cuid_53b146c0edd74b6a
	.section	.bss,"aw",@nobits
	.globl	__hip_cuid_53b146c0edd74b6a
__hip_cuid_53b146c0edd74b6a:
	.byte	0                               ; 0x0
	.size	__hip_cuid_53b146c0edd74b6a, 1

	.ident	"AMD clang version 19.0.0git (https://github.com/RadeonOpenCompute/llvm-project roc-6.4.0 25133 c7fe45cf4b819c5991fe208aaa96edf142730f1d)"
	.section	".note.GNU-stack","",@progbits
	.addrsig
	.addrsig_sym __hip_cuid_53b146c0edd74b6a
	.amdgpu_metadata
---
amdhsa.kernels:
  - .args:
      - .actual_access:  read_only
        .address_space:  global
        .offset:         0
        .size:           8
        .value_kind:     global_buffer
      - .offset:         8
        .size:           8
        .value_kind:     by_value
      - .actual_access:  read_only
        .address_space:  global
        .offset:         16
        .size:           8
        .value_kind:     global_buffer
      - .actual_access:  read_only
        .address_space:  global
        .offset:         24
        .size:           8
        .value_kind:     global_buffer
      - .offset:         32
        .size:           8
        .value_kind:     by_value
      - .actual_access:  read_only
        .address_space:  global
        .offset:         40
        .size:           8
        .value_kind:     global_buffer
      - .actual_access:  read_only
        .address_space:  global
        .offset:         48
        .size:           8
        .value_kind:     global_buffer
      - .offset:         56
        .size:           4
        .value_kind:     by_value
      - .actual_access:  read_only
        .address_space:  global
        .offset:         64
        .size:           8
        .value_kind:     global_buffer
      - .actual_access:  read_only
        .address_space:  global
        .offset:         72
        .size:           8
        .value_kind:     global_buffer
      - .address_space:  global
        .offset:         80
        .size:           8
        .value_kind:     global_buffer
    .group_segment_fixed_size: 0
    .kernarg_segment_align: 8
    .kernarg_segment_size: 88
    .language:       OpenCL C
    .language_version:
      - 2
      - 0
    .max_flat_workgroup_size: 224
    .name:           fft_rtc_fwd_len2016_factors_2_2_2_2_2_3_3_7_wgs_224_tpt_112_halfLds_half_ip_CI_unitstride_sbrr_C2R_dirReg
    .private_segment_fixed_size: 0
    .sgpr_count:     23
    .sgpr_spill_count: 0
    .symbol:         fft_rtc_fwd_len2016_factors_2_2_2_2_2_3_3_7_wgs_224_tpt_112_halfLds_half_ip_CI_unitstride_sbrr_C2R_dirReg.kd
    .uniform_work_group_size: 1
    .uses_dynamic_stack: false
    .vgpr_count:     78
    .vgpr_spill_count: 0
    .wavefront_size: 32
    .workgroup_processor_mode: 1
amdhsa.target:   amdgcn-amd-amdhsa--gfx1030
amdhsa.version:
  - 1
  - 2
...

	.end_amdgpu_metadata
